;; amdgpu-corpus repo=ROCm/rocFFT kind=compiled arch=gfx1030 opt=O3
	.text
	.amdgcn_target "amdgcn-amd-amdhsa--gfx1030"
	.amdhsa_code_object_version 6
	.protected	fft_rtc_back_len450_factors_10_5_3_3_wgs_120_tpt_30_halfLds_half_op_CI_CI_sbrr_dirReg ; -- Begin function fft_rtc_back_len450_factors_10_5_3_3_wgs_120_tpt_30_halfLds_half_op_CI_CI_sbrr_dirReg
	.globl	fft_rtc_back_len450_factors_10_5_3_3_wgs_120_tpt_30_halfLds_half_op_CI_CI_sbrr_dirReg
	.p2align	8
	.type	fft_rtc_back_len450_factors_10_5_3_3_wgs_120_tpt_30_halfLds_half_op_CI_CI_sbrr_dirReg,@function
fft_rtc_back_len450_factors_10_5_3_3_wgs_120_tpt_30_halfLds_half_op_CI_CI_sbrr_dirReg: ; @fft_rtc_back_len450_factors_10_5_3_3_wgs_120_tpt_30_halfLds_half_op_CI_CI_sbrr_dirReg
; %bb.0:
	s_clause 0x2
	s_load_dwordx4 s[16:19], s[4:5], 0x18
	s_load_dwordx4 s[12:15], s[4:5], 0x0
	;; [unrolled: 1-line block ×3, first 2 shown]
	v_mul_u32_u24_e32 v1, 0x889, v0
	v_mov_b32_e32 v3, 0
	s_waitcnt lgkmcnt(0)
	s_load_dwordx2 s[20:21], s[16:17], 0x0
	s_load_dwordx2 s[2:3], s[18:19], 0x0
	v_lshrrev_b32_e32 v7, 16, v1
	v_cmp_lt_u64_e64 s0, s[14:15], 2
	v_mov_b32_e32 v1, 0
	v_mov_b32_e32 v6, v3
	;; [unrolled: 1-line block ×3, first 2 shown]
	v_lshl_add_u32 v5, s6, 2, v7
	s_and_b32 vcc_lo, exec_lo, s0
	s_cbranch_vccnz .LBB0_8
; %bb.1:
	s_load_dwordx2 s[0:1], s[4:5], 0x10
	v_mov_b32_e32 v1, 0
	v_mov_b32_e32 v2, 0
	s_add_u32 s6, s18, 8
	s_addc_u32 s7, s19, 0
	s_add_u32 s22, s16, 8
	s_addc_u32 s23, s17, 0
	v_mov_b32_e32 v13, v2
	v_mov_b32_e32 v12, v1
	s_mov_b64 s[26:27], 1
	s_waitcnt lgkmcnt(0)
	s_add_u32 s24, s0, 8
	s_addc_u32 s25, s1, 0
.LBB0_2:                                ; =>This Inner Loop Header: Depth=1
	s_load_dwordx2 s[28:29], s[24:25], 0x0
                                        ; implicit-def: $vgpr14_vgpr15
	s_mov_b32 s0, exec_lo
	s_waitcnt lgkmcnt(0)
	v_or_b32_e32 v4, s29, v6
	v_cmpx_ne_u64_e32 0, v[3:4]
	s_xor_b32 s1, exec_lo, s0
	s_cbranch_execz .LBB0_4
; %bb.3:                                ;   in Loop: Header=BB0_2 Depth=1
	v_cvt_f32_u32_e32 v4, s28
	v_cvt_f32_u32_e32 v8, s29
	s_sub_u32 s0, 0, s28
	s_subb_u32 s30, 0, s29
	v_fmac_f32_e32 v4, 0x4f800000, v8
	v_rcp_f32_e32 v4, v4
	v_mul_f32_e32 v4, 0x5f7ffffc, v4
	v_mul_f32_e32 v8, 0x2f800000, v4
	v_trunc_f32_e32 v8, v8
	v_fmac_f32_e32 v4, 0xcf800000, v8
	v_cvt_u32_f32_e32 v8, v8
	v_cvt_u32_f32_e32 v4, v4
	v_mul_lo_u32 v9, s0, v8
	v_mul_hi_u32 v10, s0, v4
	v_mul_lo_u32 v11, s30, v4
	v_add_nc_u32_e32 v9, v10, v9
	v_mul_lo_u32 v10, s0, v4
	v_add_nc_u32_e32 v9, v9, v11
	v_mul_hi_u32 v11, v4, v10
	v_mul_lo_u32 v14, v4, v9
	v_mul_hi_u32 v15, v4, v9
	v_mul_hi_u32 v16, v8, v10
	v_mul_lo_u32 v10, v8, v10
	v_mul_hi_u32 v17, v8, v9
	v_mul_lo_u32 v9, v8, v9
	v_add_co_u32 v11, vcc_lo, v11, v14
	v_add_co_ci_u32_e32 v14, vcc_lo, 0, v15, vcc_lo
	v_add_co_u32 v10, vcc_lo, v11, v10
	v_add_co_ci_u32_e32 v10, vcc_lo, v14, v16, vcc_lo
	v_add_co_ci_u32_e32 v11, vcc_lo, 0, v17, vcc_lo
	v_add_co_u32 v9, vcc_lo, v10, v9
	v_add_co_ci_u32_e32 v10, vcc_lo, 0, v11, vcc_lo
	v_add_co_u32 v4, vcc_lo, v4, v9
	v_add_co_ci_u32_e32 v8, vcc_lo, v8, v10, vcc_lo
	v_mul_hi_u32 v9, s0, v4
	v_mul_lo_u32 v11, s30, v4
	v_mul_lo_u32 v10, s0, v8
	v_add_nc_u32_e32 v9, v9, v10
	v_mul_lo_u32 v10, s0, v4
	v_add_nc_u32_e32 v9, v9, v11
	v_mul_hi_u32 v11, v4, v10
	v_mul_lo_u32 v14, v4, v9
	v_mul_hi_u32 v15, v4, v9
	v_mul_hi_u32 v16, v8, v10
	v_mul_lo_u32 v10, v8, v10
	v_mul_hi_u32 v17, v8, v9
	v_mul_lo_u32 v9, v8, v9
	v_add_co_u32 v11, vcc_lo, v11, v14
	v_add_co_ci_u32_e32 v14, vcc_lo, 0, v15, vcc_lo
	v_add_co_u32 v10, vcc_lo, v11, v10
	v_add_co_ci_u32_e32 v10, vcc_lo, v14, v16, vcc_lo
	v_add_co_ci_u32_e32 v11, vcc_lo, 0, v17, vcc_lo
	v_add_co_u32 v9, vcc_lo, v10, v9
	v_add_co_ci_u32_e32 v10, vcc_lo, 0, v11, vcc_lo
	v_add_co_u32 v4, vcc_lo, v4, v9
	v_add_co_ci_u32_e32 v14, vcc_lo, v8, v10, vcc_lo
	v_mul_hi_u32 v16, v5, v4
	v_mad_u64_u32 v[10:11], null, v6, v4, 0
	v_mad_u64_u32 v[8:9], null, v5, v14, 0
	;; [unrolled: 1-line block ×3, first 2 shown]
	v_add_co_u32 v4, vcc_lo, v16, v8
	v_add_co_ci_u32_e32 v8, vcc_lo, 0, v9, vcc_lo
	v_add_co_u32 v4, vcc_lo, v4, v10
	v_add_co_ci_u32_e32 v4, vcc_lo, v8, v11, vcc_lo
	v_add_co_ci_u32_e32 v8, vcc_lo, 0, v15, vcc_lo
	v_add_co_u32 v4, vcc_lo, v4, v14
	v_add_co_ci_u32_e32 v10, vcc_lo, 0, v8, vcc_lo
	v_mul_lo_u32 v11, s29, v4
	v_mad_u64_u32 v[8:9], null, s28, v4, 0
	v_mul_lo_u32 v14, s28, v10
	v_sub_co_u32 v8, vcc_lo, v5, v8
	v_add3_u32 v9, v9, v14, v11
	v_sub_nc_u32_e32 v11, v6, v9
	v_subrev_co_ci_u32_e64 v11, s0, s29, v11, vcc_lo
	v_add_co_u32 v14, s0, v4, 2
	v_add_co_ci_u32_e64 v15, s0, 0, v10, s0
	v_sub_co_u32 v16, s0, v8, s28
	v_sub_co_ci_u32_e32 v9, vcc_lo, v6, v9, vcc_lo
	v_subrev_co_ci_u32_e64 v11, s0, 0, v11, s0
	v_cmp_le_u32_e32 vcc_lo, s28, v16
	v_cmp_eq_u32_e64 s0, s29, v9
	v_cndmask_b32_e64 v16, 0, -1, vcc_lo
	v_cmp_le_u32_e32 vcc_lo, s29, v11
	v_cndmask_b32_e64 v17, 0, -1, vcc_lo
	v_cmp_le_u32_e32 vcc_lo, s28, v8
	v_cndmask_b32_e64 v8, 0, -1, vcc_lo
	v_cmp_le_u32_e32 vcc_lo, s29, v9
	v_cndmask_b32_e64 v18, 0, -1, vcc_lo
	v_cmp_eq_u32_e32 vcc_lo, s29, v11
	v_cndmask_b32_e64 v8, v18, v8, s0
	v_cndmask_b32_e32 v11, v17, v16, vcc_lo
	v_add_co_u32 v16, vcc_lo, v4, 1
	v_add_co_ci_u32_e32 v17, vcc_lo, 0, v10, vcc_lo
	v_cmp_ne_u32_e32 vcc_lo, 0, v11
	v_cndmask_b32_e32 v9, v17, v15, vcc_lo
	v_cndmask_b32_e32 v11, v16, v14, vcc_lo
	v_cmp_ne_u32_e32 vcc_lo, 0, v8
	v_cndmask_b32_e32 v15, v10, v9, vcc_lo
	v_cndmask_b32_e32 v14, v4, v11, vcc_lo
.LBB0_4:                                ;   in Loop: Header=BB0_2 Depth=1
	s_andn2_saveexec_b32 s0, s1
	s_cbranch_execz .LBB0_6
; %bb.5:                                ;   in Loop: Header=BB0_2 Depth=1
	v_cvt_f32_u32_e32 v4, s28
	s_sub_i32 s1, 0, s28
	v_mov_b32_e32 v15, v3
	v_rcp_iflag_f32_e32 v4, v4
	v_mul_f32_e32 v4, 0x4f7ffffe, v4
	v_cvt_u32_f32_e32 v4, v4
	v_mul_lo_u32 v8, s1, v4
	v_mul_hi_u32 v8, v4, v8
	v_add_nc_u32_e32 v4, v4, v8
	v_mul_hi_u32 v4, v5, v4
	v_mul_lo_u32 v8, v4, s28
	v_add_nc_u32_e32 v9, 1, v4
	v_sub_nc_u32_e32 v8, v5, v8
	v_subrev_nc_u32_e32 v10, s28, v8
	v_cmp_le_u32_e32 vcc_lo, s28, v8
	v_cndmask_b32_e32 v8, v8, v10, vcc_lo
	v_cndmask_b32_e32 v4, v4, v9, vcc_lo
	v_cmp_le_u32_e32 vcc_lo, s28, v8
	v_add_nc_u32_e32 v9, 1, v4
	v_cndmask_b32_e32 v14, v4, v9, vcc_lo
.LBB0_6:                                ;   in Loop: Header=BB0_2 Depth=1
	s_or_b32 exec_lo, exec_lo, s0
	v_mul_lo_u32 v4, v15, s28
	v_mul_lo_u32 v10, v14, s29
	s_load_dwordx2 s[0:1], s[22:23], 0x0
	v_mad_u64_u32 v[8:9], null, v14, s28, 0
	s_load_dwordx2 s[28:29], s[6:7], 0x0
	s_add_u32 s26, s26, 1
	s_addc_u32 s27, s27, 0
	s_add_u32 s6, s6, 8
	s_addc_u32 s7, s7, 0
	s_add_u32 s22, s22, 8
	v_add3_u32 v4, v9, v10, v4
	v_sub_co_u32 v5, vcc_lo, v5, v8
	s_addc_u32 s23, s23, 0
	s_add_u32 s24, s24, 8
	v_sub_co_ci_u32_e32 v4, vcc_lo, v6, v4, vcc_lo
	s_addc_u32 s25, s25, 0
	s_waitcnt lgkmcnt(0)
	v_mul_lo_u32 v6, s0, v4
	v_mul_lo_u32 v8, s1, v5
	v_mad_u64_u32 v[1:2], null, s0, v5, v[1:2]
	v_mul_lo_u32 v4, s28, v4
	v_mul_lo_u32 v9, s29, v5
	v_mad_u64_u32 v[12:13], null, s28, v5, v[12:13]
	v_cmp_ge_u64_e64 s0, s[26:27], s[14:15]
	v_add3_u32 v2, v8, v2, v6
	v_add3_u32 v13, v9, v13, v4
	s_and_b32 vcc_lo, exec_lo, s0
	s_cbranch_vccnz .LBB0_9
; %bb.7:                                ;   in Loop: Header=BB0_2 Depth=1
	v_mov_b32_e32 v5, v14
	v_mov_b32_e32 v6, v15
	s_branch .LBB0_2
.LBB0_8:
	v_mov_b32_e32 v13, v2
	v_mov_b32_e32 v15, v6
	;; [unrolled: 1-line block ×4, first 2 shown]
.LBB0_9:
	s_load_dwordx2 s[0:1], s[4:5], 0x28
	v_mul_hi_u32 v43, 0x8888889, v0
	s_lshl_b64 s[6:7], s[14:15], 3
                                        ; implicit-def: $vgpr20
	s_add_u32 s4, s18, s6
	s_addc_u32 s5, s19, s7
	s_waitcnt lgkmcnt(0)
	v_cmp_gt_u64_e32 vcc_lo, s[0:1], v[14:15]
	v_cmp_le_u64_e64 s0, s[0:1], v[14:15]
	s_and_saveexec_b32 s1, s0
	s_xor_b32 s0, exec_lo, s1
; %bb.10:
	v_mul_u32_u24_e32 v1, 30, v43
                                        ; implicit-def: $vgpr43
	v_sub_nc_u32_e32 v20, v0, v1
                                        ; implicit-def: $vgpr0
                                        ; implicit-def: $vgpr1_vgpr2
; %bb.11:
	s_or_saveexec_b32 s1, s0
	s_load_dwordx2 s[4:5], s[4:5], 0x0
                                        ; implicit-def: $vgpr4
                                        ; implicit-def: $vgpr24
                                        ; implicit-def: $vgpr5
                                        ; implicit-def: $vgpr26
                                        ; implicit-def: $vgpr8
                                        ; implicit-def: $vgpr17
                                        ; implicit-def: $vgpr35
                                        ; implicit-def: $vgpr21
                                        ; implicit-def: $vgpr25
                                        ; implicit-def: $vgpr41
                                        ; implicit-def: $vgpr29
                                        ; implicit-def: $vgpr10
                                        ; implicit-def: $vgpr28
                                        ; implicit-def: $vgpr38
                                        ; implicit-def: $vgpr30
                                        ; implicit-def: $vgpr11
                                        ; implicit-def: $vgpr33
                                        ; implicit-def: $vgpr39
                                        ; implicit-def: $vgpr31
                                        ; implicit-def: $vgpr16
                                        ; implicit-def: $vgpr34
                                        ; implicit-def: $vgpr42
                                        ; implicit-def: $vgpr32
                                        ; implicit-def: $vgpr19
                                        ; implicit-def: $vgpr36
                                        ; implicit-def: $vgpr3
                                        ; implicit-def: $vgpr23
                                        ; implicit-def: $vgpr22
                                        ; implicit-def: $vgpr27
                                        ; implicit-def: $vgpr9
                                        ; implicit-def: $vgpr6
                                        ; implicit-def: $vgpr18
                                        ; implicit-def: $vgpr40
                                        ; implicit-def: $vgpr37
	s_xor_b32 exec_lo, exec_lo, s1
	s_cbranch_execz .LBB0_15
; %bb.12:
	s_add_u32 s6, s16, s6
	s_addc_u32 s7, s17, s7
	v_mul_u32_u24_e32 v3, 30, v43
	s_load_dwordx2 s[6:7], s[6:7], 0x0
                                        ; implicit-def: $vgpr37
                                        ; implicit-def: $vgpr40
	v_sub_nc_u32_e32 v20, v0, v3
	v_lshlrev_b64 v[0:1], 2, v[1:2]
	v_mad_u64_u32 v[3:4], null, s20, v20, 0
	v_add_nc_u32_e32 v19, 45, v20
	v_add_nc_u32_e32 v24, 0x5a, v20
	;; [unrolled: 1-line block ×5, first 2 shown]
	v_mad_u64_u32 v[5:6], null, s20, v19, 0
	v_mov_b32_e32 v2, v4
	v_mad_u64_u32 v[8:9], null, s20, v24, 0
	s_waitcnt lgkmcnt(0)
	v_mul_lo_u32 v4, s7, v14
	v_mul_lo_u32 v21, s6, v15
	v_mad_u64_u32 v[10:11], null, s6, v14, 0
	v_mad_u64_u32 v[16:17], null, s21, v20, v[2:3]
	v_mov_b32_e32 v2, v6
	v_mov_b32_e32 v6, v9
	v_mad_u64_u32 v[17:18], null, s20, v26, 0
	v_add3_u32 v11, v11, v21, v4
	v_mad_u64_u32 v[21:22], null, s21, v19, v[2:3]
	v_mov_b32_e32 v4, v16
	v_mad_u64_u32 v[22:23], null, s20, v27, 0
	v_lshlrev_b64 v[9:10], 2, v[10:11]
	v_mov_b32_e32 v2, v18
	v_lshlrev_b64 v[3:4], 2, v[3:4]
	v_mad_u64_u32 v[24:25], null, s21, v24, v[6:7]
	v_add_nc_u32_e32 v19, 0xe1, v20
	v_add_co_u32 v11, s0, s8, v9
	v_add_co_ci_u32_e64 v10, s0, s9, v10, s0
	v_add_nc_u32_e32 v30, 0x13b, v20
	v_add_co_u32 v0, s0, v11, v0
	v_add_co_ci_u32_e64 v1, s0, v10, v1, s0
	v_mov_b32_e32 v9, v24
	v_add_co_u32 v3, s0, v0, v3
	v_mad_u64_u32 v[24:25], null, s20, v19, 0
	v_mov_b32_e32 v6, v21
	v_mad_u64_u32 v[10:11], null, s21, v26, v[2:3]
	v_mov_b32_e32 v2, v23
	v_lshlrev_b64 v[8:9], 2, v[8:9]
	v_lshlrev_b64 v[5:6], 2, v[5:6]
	v_add_co_ci_u32_e64 v4, s0, v1, v4, s0
	v_add_nc_u32_e32 v35, 0x195, v20
	v_mov_b32_e32 v18, v10
	v_mad_u64_u32 v[10:11], null, s21, v27, v[2:3]
	v_mov_b32_e32 v2, v25
	v_mad_u64_u32 v[26:27], null, s20, v30, 0
	v_lshlrev_b64 v[16:17], 2, v[17:18]
	v_add_co_u32 v5, s0, v0, v5
	v_mov_b32_e32 v23, v10
	v_mad_u64_u32 v[10:11], null, s20, v28, 0
	v_mad_u64_u32 v[18:19], null, s21, v19, v[2:3]
	v_lshlrev_b64 v[21:22], 2, v[22:23]
	v_add_nc_u32_e32 v23, 0x168, v20
	v_add_co_ci_u32_e64 v6, s0, v1, v6, s0
	v_mov_b32_e32 v2, v11
	v_add_co_u32 v8, s0, v0, v8
	v_mov_b32_e32 v25, v18
	v_add_co_ci_u32_e64 v9, s0, v1, v9, s0
	v_mad_u64_u32 v[18:19], null, s21, v28, v[2:3]
	v_mov_b32_e32 v2, v27
	v_mad_u64_u32 v[28:29], null, s20, v23, 0
	v_add_co_u32 v16, s0, v0, v16
	v_mad_u64_u32 v[30:31], null, s21, v30, v[2:3]
	v_mad_u64_u32 v[31:32], null, s20, v35, 0
	v_add_co_ci_u32_e64 v17, s0, v1, v17, s0
	v_add_co_u32 v33, s0, v0, v21
	v_mov_b32_e32 v2, v29
	v_add_co_ci_u32_e64 v34, s0, v1, v22, s0
	v_lshlrev_b64 v[21:22], 2, v[24:25]
	v_mov_b32_e32 v11, v18
	v_mad_u64_u32 v[18:19], null, s21, v23, v[2:3]
	v_mov_b32_e32 v2, v32
	v_mov_b32_e32 v27, v30
	v_add_co_u32 v23, s0, v0, v21
	v_add_co_ci_u32_e64 v24, s0, v1, v22, s0
	v_mad_u64_u32 v[21:22], null, s21, v35, v[2:3]
	v_lshlrev_b64 v[10:11], 2, v[10:11]
	v_mov_b32_e32 v29, v18
	v_lshlrev_b64 v[25:26], 2, v[26:27]
	s_mov_b32 s6, exec_lo
                                        ; implicit-def: $vgpr35
	v_mov_b32_e32 v32, v21
	v_add_co_u32 v10, s0, v0, v10
	v_lshlrev_b64 v[18:19], 2, v[28:29]
	v_add_co_ci_u32_e64 v11, s0, v1, v11, s0
	v_add_co_u32 v25, s0, v0, v25
	v_lshlrev_b64 v[21:22], 2, v[31:32]
	v_add_co_ci_u32_e64 v26, s0, v1, v26, s0
	v_add_co_u32 v27, s0, v0, v18
	v_add_co_ci_u32_e64 v28, s0, v1, v19, s0
	v_add_co_u32 v29, s0, v0, v21
	v_add_co_ci_u32_e64 v30, s0, v1, v22, s0
	s_clause 0x9
	global_load_dword v22, v[3:4], off
	global_load_dword v3, v[5:6], off
	;; [unrolled: 1-line block ×10, first 2 shown]
                                        ; implicit-def: $vgpr18
                                        ; implicit-def: $vgpr6
                                        ; implicit-def: $vgpr9
                                        ; implicit-def: $vgpr27
                                        ; implicit-def: $vgpr21
                                        ; implicit-def: $vgpr17
                                        ; implicit-def: $vgpr8
                                        ; implicit-def: $vgpr26
                                        ; implicit-def: $vgpr5
                                        ; implicit-def: $vgpr24
                                        ; implicit-def: $vgpr4
	v_cmpx_gt_u32_e32 15, v20
	s_cbranch_execz .LBB0_14
; %bb.13:
	v_add_nc_u32_e32 v21, 30, v20
	v_add_nc_u32_e32 v25, 0x4b, v20
	;; [unrolled: 1-line block ×5, first 2 shown]
	v_mad_u64_u32 v[4:5], null, s20, v21, 0
	v_mad_u64_u32 v[8:9], null, s20, v25, 0
	;; [unrolled: 1-line block ×4, first 2 shown]
	v_mov_b32_e32 v2, v5
	v_add_nc_u32_e32 v33, 0xff, v20
	v_mov_b32_e32 v5, v9
	v_add_nc_u32_e32 v37, 0x159, v20
	v_mov_b32_e32 v6, v18
	s_waitcnt vmcnt(8)
	v_mad_u64_u32 v[23:24], null, s21, v21, v[2:3]
	v_mad_u64_u32 v[24:25], null, s21, v25, v[5:6]
	;; [unrolled: 1-line block ×4, first 2 shown]
	v_mov_b32_e32 v5, v23
	v_mov_b32_e32 v6, v28
	;; [unrolled: 1-line block ×4, first 2 shown]
	v_lshlrev_b64 v[4:5], 2, v[4:5]
	v_mov_b32_e32 v18, v29
	v_lshlrev_b64 v[8:9], 2, v[8:9]
	v_mad_u64_u32 v[23:24], null, s21, v31, v[2:3]
	v_add_co_u32 v4, s0, v0, v4
	v_lshlrev_b64 v[17:18], 2, v[17:18]
	v_add_co_ci_u32_e64 v5, s0, v1, v5, s0
	v_add_co_u32 v29, s0, v0, v8
	v_add_co_ci_u32_e64 v30, s0, v1, v9, s0
	global_load_dword v21, v[4:5], off
	v_add_co_u32 v4, s0, v0, v17
	v_add_co_ci_u32_e64 v5, s0, v1, v18, s0
	v_mov_b32_e32 v26, v23
	v_mad_u64_u32 v[8:9], null, s21, v32, v[6:7]
	global_load_dword v45, v[4:5], off
	v_add_nc_u32_e32 v17, 0x12c, v20
	v_lshlrev_b64 v[4:5], 2, v[25:26]
	v_mad_u64_u32 v[25:26], null, s20, v33, 0
	v_mad_u64_u32 v[31:32], null, s20, v37, 0
	;; [unrolled: 1-line block ×3, first 2 shown]
	v_mov_b32_e32 v28, v8
	v_add_co_u32 v4, s0, v0, v4
	v_mov_b32_e32 v6, v26
	v_add_nc_u32_e32 v26, 0x186, v20
	v_lshlrev_b64 v[8:9], 2, v[27:28]
	v_mov_b32_e32 v2, v24
	v_add_co_ci_u32_e64 v5, s0, v1, v5, s0
	v_mad_u64_u32 v[27:28], null, s20, v26, 0
	v_mad_u64_u32 v[17:18], null, s21, v17, v[2:3]
	;; [unrolled: 1-line block ×3, first 2 shown]
	v_add_nc_u32_e32 v18, 0x1b3, v20
	v_add_co_u32 v8, s0, v0, v8
	v_mov_b32_e32 v2, v28
	v_add_co_ci_u32_e64 v9, s0, v1, v9, s0
	v_mov_b32_e32 v24, v17
	v_mov_b32_e32 v6, v32
	v_mad_u64_u32 v[34:35], null, s21, v26, v[2:3]
	v_mad_u64_u32 v[35:36], null, s20, v18, 0
	v_mov_b32_e32 v26, v33
	global_load_dword v17, v[8:9], off
	v_lshlrev_b64 v[8:9], 2, v[23:24]
	v_mad_u64_u32 v[23:24], null, s21, v37, v[6:7]
	v_mov_b32_e32 v28, v34
	v_lshlrev_b64 v[24:25], 2, v[25:26]
	v_mov_b32_e32 v2, v36
	v_add_co_u32 v8, s0, v0, v8
	v_lshlrev_b64 v[27:28], 2, v[27:28]
	v_add_co_ci_u32_e64 v9, s0, v1, v9, s0
	v_add_co_u32 v43, s0, v0, v24
	v_mad_u64_u32 v[33:34], null, s21, v18, v[2:3]
	v_add_co_ci_u32_e64 v44, s0, v1, v25, s0
	v_mov_b32_e32 v32, v23
	v_add_co_u32 v23, s0, v0, v27
	v_add_co_ci_u32_e64 v24, s0, v1, v28, s0
	v_mov_b32_e32 v36, v33
	s_clause 0x1
	global_load_dword v26, v[8:9], off
	global_load_dword v24, v[23:24], off
	v_lshlrev_b64 v[8:9], 2, v[31:32]
	v_lshlrev_b64 v[27:28], 2, v[35:36]
	v_add_co_u32 v8, s0, v0, v8
	v_add_co_ci_u32_e64 v9, s0, v1, v9, s0
	v_add_co_u32 v0, s0, v0, v27
	v_add_co_ci_u32_e64 v1, s0, v1, v28, s0
	s_clause 0x4
	global_load_dword v9, v[8:9], off
	global_load_dword v18, v[43:44], off
	;; [unrolled: 1-line block ×5, first 2 shown]
	s_waitcnt vmcnt(8)
	v_lshrrev_b32_e32 v35, 16, v45
	v_alignbit_b32 v27, v45, v21, 16
	s_waitcnt vmcnt(7)
	v_lshrrev_b32_e32 v8, 16, v17
	s_waitcnt vmcnt(6)
	v_lshrrev_b32_e32 v5, 16, v26
	;; [unrolled: 2-line block ×3, first 2 shown]
.LBB0_14:
	s_or_b32 exec_lo, exec_lo, s6
	s_waitcnt vmcnt(9)
	v_lshrrev_b32_e32 v23, 16, v22
	s_waitcnt vmcnt(8)
	v_lshrrev_b32_e32 v36, 16, v3
	;; [unrolled: 2-line block ×10, first 2 shown]
.LBB0_15:
	s_or_b32 exec_lo, exec_lo, s1
	v_add_f16_e32 v0, v11, v16
	v_and_b32_e32 v1, 3, v7
	v_sub_f16_e32 v7, v32, v29
	v_add_f16_e32 v46, v10, v19
	v_add_f16_e32 v2, v19, v22
	v_fma_f16 v45, -0.5, v0, v22
	v_sub_f16_e32 v43, v31, v30
	v_sub_f16_e32 v0, v19, v16
	;; [unrolled: 1-line block ×3, first 2 shown]
	v_fmac_f16_e32 v22, -0.5, v46
	v_fmamk_f16 v47, v7, 0xbb9c, v45
	v_fmac_f16_e32 v45, 0x3b9c, v7
	v_sub_f16_e32 v48, v16, v19
	v_add_f16_e32 v44, v44, v0
	v_mul_u32_u24_e32 v0, 0x1c2, v1
	v_fmac_f16_e32 v47, 0xb8b4, v43
	v_fmamk_f16 v46, v43, 0x3b9c, v22
	v_sub_f16_e32 v1, v11, v10
	v_fmac_f16_e32 v22, 0xbb9c, v43
	v_fmac_f16_e32 v45, 0x38b4, v43
	v_add_f16_e32 v43, v38, v39
	v_fmac_f16_e32 v46, 0xb8b4, v7
	v_add_f16_e32 v48, v1, v48
	v_fmac_f16_e32 v22, 0x38b4, v7
	v_sub_f16_e32 v49, v34, v25
	v_fma_f16 v1, -0.5, v43, v3
	v_fmac_f16_e32 v47, 0x34f2, v44
	v_add_f16_e32 v7, v42, v3
	v_fmac_f16_e32 v45, 0x34f2, v44
	v_fmac_f16_e32 v46, 0x34f2, v48
	;; [unrolled: 1-line block ×3, first 2 shown]
	v_fmamk_f16 v43, v49, 0xbb9c, v1
	v_sub_f16_e32 v50, v33, v28
	v_sub_f16_e32 v44, v42, v39
	;; [unrolled: 1-line block ×3, first 2 shown]
	v_fmac_f16_e32 v1, 0x3b9c, v49
	v_add_f16_e32 v7, v39, v7
	v_fmac_f16_e32 v43, 0xb8b4, v50
	v_add_f16_e32 v51, v41, v42
	v_add_f16_e32 v44, v48, v44
	v_fmac_f16_e32 v1, 0x38b4, v50
	v_add_f16_e32 v48, v28, v33
	v_add_f16_e32 v53, v25, v34
	;; [unrolled: 1-line block ×3, first 2 shown]
	v_fmac_f16_e32 v3, -0.5, v51
	v_fmac_f16_e32 v43, 0x34f2, v44
	v_fmac_f16_e32 v1, 0x34f2, v44
	v_fma_f16 v44, -0.5, v48, v36
	v_sub_f16_e32 v51, v42, v41
	v_sub_f16_e32 v42, v39, v42
	;; [unrolled: 1-line block ×6, first 2 shown]
	v_fma_f16 v38, -0.5, v53, v36
	v_add_f16_e32 v7, v41, v7
	v_fmamk_f16 v41, v51, 0x3b9c, v44
	v_add_f16_e32 v42, v52, v42
	v_add_f16_e32 v52, v55, v39
	v_fmamk_f16 v39, v54, 0xbb9c, v38
	v_sub_f16_e32 v53, v33, v34
	v_sub_f16_e32 v55, v28, v25
	v_fmac_f16_e32 v38, 0x3b9c, v54
	v_fmamk_f16 v48, v50, 0x3b9c, v3
	v_fmac_f16_e32 v41, 0x38b4, v54
	v_fmac_f16_e32 v3, 0xbb9c, v50
	v_add_f16_e32 v50, v55, v53
	v_fmac_f16_e32 v44, 0xbb9c, v51
	v_fmac_f16_e32 v38, 0xb8b4, v51
	v_add_f16_e32 v2, v16, v2
	v_fmac_f16_e32 v41, 0x34f2, v52
	v_fmac_f16_e32 v39, 0x38b4, v51
	;; [unrolled: 1-line block ×5, first 2 shown]
	v_pk_add_f16 v51, v40, v18 neg_lo:[0,1] neg_hi:[0,1]
	v_pk_add_f16 v54, v6, v9 neg_lo:[0,1] neg_hi:[0,1]
	v_add_f16_e32 v2, v11, v2
	v_fmac_f16_e32 v48, 0xb8b4, v49
	v_mul_f16_e32 v49, 0xb8b4, v41
	v_fmac_f16_e32 v39, 0x34f2, v50
	v_fmac_f16_e32 v3, 0x34f2, v42
	;; [unrolled: 1-line block ×3, first 2 shown]
	v_mul_f16_e32 v50, 0xbb9c, v38
	v_add_f16_e32 v56, v9, v18
	v_pk_add_f16 v57, v40, v6 neg_lo:[0,1] neg_hi:[0,1]
	v_pk_add_f16 v58, v18, v9 neg_lo:[0,1] neg_hi:[0,1]
	v_pk_add_f16 v51, v54, v51
	v_add_f16_e32 v2, v10, v2
	v_fmac_f16_e32 v48, 0x34f2, v42
	v_fmac_f16_e32 v49, 0x3a79, v43
	v_mul_f16_e32 v42, 0xbb9c, v39
	v_mul_f16_e32 v55, 0xb8b4, v44
	v_fmac_f16_e32 v50, 0xb4f2, v3
	v_fma_f16 v54, -0.5, v56, v37
	v_lshrrev_b32_e32 v56, 16, v57
	v_bfi_b32 v51, 0xffff, v51, v58
	v_add_f16_e32 v52, v7, v2
	v_add_f16_e32 v53, v47, v49
	v_fmac_f16_e32 v42, 0x34f2, v48
	v_fmac_f16_e32 v55, 0xba79, v1
	v_add_f16_e32 v60, v22, v50
	v_fmamk_f16 v62, v56, 0xbb9c, v54
	v_pk_mul_f16 v51, 0x38b434f2, v51
	v_sub_f16_e32 v63, v2, v7
	v_sub_f16_e32 v64, v47, v49
	v_fmac_f16_e32 v54, 0x3b9c, v56
	v_lshrrev_b32_e32 v49, 16, v37
	v_add_f16_sdwa v7, v9, v18 dst_sel:DWORD dst_unused:UNUSED_PAD src0_sel:WORD_1 src1_sel:WORD_1
	v_sub_f16_e32 v22, v22, v50
	v_pk_add_f16 v50, v6, v40
	v_add_f16_e32 v59, v46, v42
	v_add_f16_e32 v61, v45, v55
	v_sub_f16_e32 v42, v46, v42
	v_sub_f16_sdwa v2, v62, v51 dst_sel:DWORD dst_unused:UNUSED_PAD src0_sel:DWORD src1_sel:WORD_1
	v_add_f16_sdwa v46, v51, v54 dst_sel:DWORD dst_unused:UNUSED_PAD src0_sel:WORD_1 src1_sel:DWORD
	v_sub_f16_e32 v54, v45, v55
	v_fma_f16 v7, -0.5, v7, v49
	v_pk_fma_f16 v50, v50, -0.5, v37 op_sel_hi:[1,0,1]
	v_pk_mul_f16 v55, 0x3b9c, v58 op_sel_hi:[0,1]
	v_add_f16_e32 v47, v51, v2
	v_add_f16_e32 v2, v51, v46
	v_pk_add_f16 v46, v18, v40 neg_lo:[0,1] neg_hi:[0,1]
	v_pk_add_f16 v51, v9, v6 neg_lo:[0,1] neg_hi:[0,1]
	v_fmamk_f16 v45, v57, 0x3b9c, v7
	v_sub_f16_sdwa v56, v40, v18 dst_sel:DWORD dst_unused:UNUSED_PAD src0_sel:WORD_1 src1_sel:WORD_1
	v_sub_f16_sdwa v62, v6, v9 dst_sel:DWORD dst_unused:UNUSED_PAD src0_sel:WORD_1 src1_sel:WORD_1
	v_fmac_f16_e32 v7, 0xbb9c, v57
	v_pk_add_f16 v65, v50, v55 op_sel:[0,1] op_sel_hi:[1,0] neg_lo:[0,1] neg_hi:[0,1]
	v_pk_mul_f16 v57, 0x38b4, v57 op_sel_hi:[0,1]
	v_pk_add_f16 v50, v55, v50 op_sel:[1,0] op_sel_hi:[0,1]
	v_mul_u32_u24_e32 v55, 10, v20
	v_fmac_f16_e32 v45, 0x38b4, v58
	v_add_f16_e32 v56, v62, v56
	v_fmac_f16_e32 v7, 0xb8b4, v58
	v_pk_add_f16 v58, v57, v65 op_sel:[1,0] op_sel_hi:[0,1]
	v_pk_add_f16 v51, v51, v46
	v_pk_add_f16 v50, v50, v57 op_sel:[0,1] op_sel_hi:[1,0] neg_lo:[0,1] neg_hi:[0,1]
	v_lshl_add_u32 v55, v55, 1, 0
	v_fmac_f16_e32 v45, 0x34f2, v56
	v_fmac_f16_e32 v7, 0x34f2, v56
	v_pk_fma_f16 v46, 0x34f2, v51, v58 op_sel_hi:[0,1,1]
	v_pk_fma_f16 v50, 0x34f2, v51, v50 op_sel_hi:[0,1,1]
	v_lshl_add_u32 v51, v0, 1, v55
	v_pack_b32_f16 v55, v59, v60
	v_pack_b32_f16 v52, v52, v53
	v_cmp_gt_u32_e64 s0, 15, v20
	v_pack_b32_f16 v42, v64, v42
	v_pack_b32_f16 v53, v61, v63
	v_pack_b32_f16 v22, v22, v54
	ds_write2_b32 v51, v52, v55 offset1:1
	ds_write2_b32 v51, v53, v42 offset0:2 offset1:3
	ds_write_b32 v51, v22 offset:16
	s_and_saveexec_b32 s1, s0
	s_cbranch_execz .LBB0_17
; %bb.16:
	v_add_f16_sdwa v54, v24, v27 dst_sel:DWORD dst_unused:UNUSED_PAD src0_sel:DWORD src1_sel:WORD_1
	v_add_f16_e32 v22, v26, v17
	v_sub_f16_sdwa v42, v27, v17 dst_sel:DWORD dst_unused:UNUSED_PAD src0_sel:WORD_1 src1_sel:DWORD
	v_sub_f16_e32 v52, v24, v26
	v_sub_f16_e32 v55, v8, v5
	v_fma_f16 v54, -0.5, v54, v21
	v_sub_f16_e32 v53, v35, v4
	v_fma_f16 v22, -0.5, v22, v21
	v_sub_f16_sdwa v57, v17, v27 dst_sel:DWORD dst_unused:UNUSED_PAD src0_sel:DWORD src1_sel:WORD_1
	v_sub_f16_e32 v59, v26, v24
	v_add_f16_e32 v42, v52, v42
	v_fmamk_f16 v52, v55, 0xbb9c, v54
	v_fmac_f16_e32 v54, 0x3b9c, v55
	v_add_f16_sdwa v21, v27, v21 dst_sel:DWORD dst_unused:UNUSED_PAD src0_sel:WORD_1 src1_sel:DWORD
	v_add_f16_e32 v37, v40, v37
	v_fmamk_f16 v58, v53, 0x3b9c, v22
	v_mov_b32_e32 v60, 0xbb9c
	v_add_f16_e32 v57, v59, v57
	v_fmac_f16_e32 v52, 0x38b4, v53
	v_fmac_f16_e32 v22, 0xbb9c, v53
	;; [unrolled: 1-line block ×3, first 2 shown]
	v_add_f16_e32 v21, v17, v21
	v_add_f16_e32 v37, v18, v37
	v_fmac_f16_e32 v58, 0x38b4, v55
	v_mul_f16_sdwa v59, v50, v60 dst_sel:DWORD dst_unused:UNUSED_PAD src0_sel:WORD_1 src1_sel:DWORD
	v_fmac_f16_e32 v52, 0x34f2, v57
	v_fmac_f16_e32 v54, 0x34f2, v57
	v_mul_f16_sdwa v57, v46, v60 dst_sel:DWORD dst_unused:UNUSED_PAD src0_sel:WORD_1 src1_sel:DWORD
	v_fmac_f16_e32 v22, 0xb8b4, v55
	v_mul_f16_e32 v55, 0xb8b4, v45
	v_add_f16_e32 v21, v26, v21
	v_add_f16_e32 v37, v9, v37
	v_mul_f16_e32 v56, 0xb8b4, v7
	v_fmac_f16_e32 v57, 0x34f2, v50
	v_fmac_f16_e32 v22, 0x34f2, v42
	;; [unrolled: 1-line block ×4, first 2 shown]
	v_add_f16_e32 v21, v24, v21
	v_add_f16_e32 v37, v6, v37
	v_fmac_f16_e32 v56, 0xba79, v2
	v_fmac_f16_e32 v58, 0x34f2, v42
	v_sub_f16_e32 v42, v54, v57
	v_sub_f16_e32 v60, v22, v55
	v_add_f16_e32 v61, v52, v59
	v_add_f16_e32 v54, v54, v57
	;; [unrolled: 1-line block ×4, first 2 shown]
	v_sub_f16_e32 v21, v21, v37
	v_add_f16_e32 v37, v58, v56
	v_sub_f16_e32 v53, v58, v56
	v_sub_f16_e32 v52, v52, v59
	v_pack_b32_f16 v54, v54, v61
	v_pack_b32_f16 v22, v55, v22
	v_pack_b32_f16 v42, v60, v42
	v_pack_b32_f16 v21, v37, v21
	v_pack_b32_f16 v37, v52, v53
	ds_write2_b32 v51, v22, v54 offset0:150 offset1:151
	ds_write2_b32 v51, v21, v42 offset0:152 offset1:153
	ds_write_b32 v51, v37 offset:616
.LBB0_17:
	s_or_b32 exec_lo, exec_lo, s1
	v_add_f16_e32 v21, v30, v31
	v_add_f16_e32 v22, v32, v23
	v_sub_f16_e32 v10, v19, v10
	v_sub_f16_e32 v11, v16, v11
	v_sub_f16_e32 v16, v32, v31
	v_fma_f16 v19, -0.5, v21, v23
	v_sub_f16_e32 v21, v29, v30
	v_add_f16_e32 v37, v29, v32
	v_add_f16_e32 v22, v31, v22
	;; [unrolled: 1-line block ×3, first 2 shown]
	v_fmamk_f16 v52, v10, 0x3b9c, v19
	v_add_f16_e32 v16, v21, v16
	v_fmac_f16_e32 v23, -0.5, v37
	v_add_f16_e32 v21, v30, v22
	v_fmac_f16_e32 v19, 0xbb9c, v10
	v_add_f16_e32 v22, v33, v34
	v_fmac_f16_e32 v52, 0x38b4, v11
	v_fmamk_f16 v53, v11, 0xbb9c, v23
	v_add_f16_e32 v54, v29, v21
	v_sub_f16_e32 v21, v31, v32
	v_sub_f16_e32 v29, v30, v29
	v_fmac_f16_e32 v23, 0x3b9c, v11
	v_fmac_f16_e32 v19, 0xb8b4, v11
	;; [unrolled: 1-line block ×3, first 2 shown]
	v_add_f16_e32 v11, v28, v22
	v_add_f16_e32 v21, v29, v21
	v_fmac_f16_e32 v23, 0xb8b4, v10
	v_fmac_f16_e32 v52, 0x34f2, v16
	;; [unrolled: 1-line block ×3, first 2 shown]
	v_lshlrev_b32_e32 v16, 1, v20
	v_add_f16_e32 v10, v25, v11
	v_fmac_f16_e32 v53, 0x34f2, v21
	v_fmac_f16_e32 v23, 0x34f2, v21
	v_mul_f16_e32 v21, 0x34f2, v38
	v_lshlrev_b32_e32 v25, 1, v0
	v_mul_f16_e32 v22, 0x3a79, v44
	v_add_nc_u32_e32 v0, 0, v16
	v_mul_f16_e32 v55, 0x38b4, v43
	v_mul_f16_e32 v11, 0x3b9c, v48
	v_fma_f16 v3, v3, 0x3b9c, -v21
	v_add3_u32 v21, 0, v25, v16
	v_fma_f16 v1, v1, 0x38b4, -v22
	v_add_nc_u32_e32 v22, v0, v25
	v_fmac_f16_e32 v55, 0x3a79, v41
	v_fmac_f16_e32 v11, 0x34f2, v39
	s_waitcnt lgkmcnt(0)
	s_barrier
	buffer_gl0_inv
	ds_read_u16 v28, v21
	ds_read_u16 v29, v22 offset:60
	ds_read_u16 v37, v22 offset:240
	;; [unrolled: 1-line block ×14, first 2 shown]
	v_add_f16_e32 v48, v10, v54
	v_add_f16_e32 v56, v52, v55
	;; [unrolled: 1-line block ×5, first 2 shown]
	v_sub_f16_e32 v10, v54, v10
	v_sub_f16_e32 v52, v52, v55
	;; [unrolled: 1-line block ×5, first 2 shown]
	v_add_nc_u32_e32 v23, 30, v20
	v_pack_b32_f16 v0, v57, v0
	v_pack_b32_f16 v19, v48, v56
	;; [unrolled: 1-line block ×5, first 2 shown]
	s_waitcnt lgkmcnt(0)
	s_barrier
	buffer_gl0_inv
	ds_write2_b32 v51, v19, v0 offset1:1
	ds_write2_b32 v51, v10, v11 offset0:2 offset1:3
	ds_write_b32 v51, v1 offset:16
	s_and_saveexec_b32 s1, s0
	s_cbranch_execz .LBB0_19
; %bb.18:
	v_add_f16_e32 v0, v4, v35
	v_add_f16_e32 v1, v35, v27
	v_sub_f16_e32 v10, v17, v26
	v_sub_f16_e32 v11, v35, v8
	;; [unrolled: 1-line block ×3, first 2 shown]
	v_mul_f16_e32 v0, 0.5, v0
	v_sub_f16_e32 v19, v8, v35
	v_sub_f16_e32 v26, v5, v4
	v_add_f16_e32 v3, v5, v8
	v_add_f16_e32 v1, v8, v1
	v_perm_b32 v0, v24, v0, 0x5040100
	v_add_f16_e32 v8, v17, v11
	v_mul_f16_e32 v11, 0x3b9c, v10
	v_add_f16_e32 v17, v26, v19
	v_add_f16_sdwa v35, v40, v49 dst_sel:DWORD dst_unused:UNUSED_PAD src0_sel:WORD_1 src1_sel:DWORD
	v_pk_add_f16 v0, v27, v0 neg_lo:[0,1] neg_hi:[0,1]
	v_add_f16_e32 v1, v5, v1
	v_pack_b32_f16 v5, v11, 0x38b4
	v_fma_f16 v3, -0.5, v3, v27
	v_add_f16_sdwa v18, v18, v35 dst_sel:DWORD dst_unused:UNUSED_PAD src0_sel:WORD_1 src1_sel:DWORD
	v_bfi_b32 v19, 0xffff, v10, v0
	v_fmamk_f16 v10, v10, 0xbb9c, v0
	v_add_f16_e32 v1, v4, v1
	v_pk_add_f16 v4, v0, v5
	v_pk_mul_f16 v40, 0x34f23b9c, v50
	v_pk_mul_f16 v11, 0x3b9c38b4, v19
	;; [unrolled: 1-line block ×3, first 2 shown]
	v_add_f16_sdwa v9, v9, v18 dst_sel:DWORD dst_unused:UNUSED_PAD src0_sel:WORD_1 src1_sel:DWORD
	v_mul_f16_e32 v24, 0x38b4, v47
	v_mul_f16_e32 v7, 0x3a79, v7
	v_add_f16_sdwa v18, v11, v3 dst_sel:DWORD dst_unused:UNUSED_PAD src0_sel:WORD_1 src1_sel:DWORD
	v_alignbit_b32 v10, v10, v19, 16
	v_alignbit_b32 v19, s0, v19, 16
	v_sub_f16_sdwa v3, v3, v11 dst_sel:DWORD dst_unused:UNUSED_PAD src0_sel:DWORD src1_sel:WORD_1
	v_add_f16_sdwa v6, v6, v9 dst_sel:DWORD dst_unused:UNUSED_PAD src0_sel:WORD_1 src1_sel:DWORD
	v_add_f16_e32 v9, v11, v18
	v_pk_fma_f16 v0, v0, v5, v10
	v_pk_add_f16 v4, v4, v19 neg_lo:[0,1] neg_hi:[0,1]
	v_mul_f16_e32 v5, 0x34f2, v17
	v_sub_f16_e32 v3, v3, v11
	v_pk_fma_f16 v11, 0x34f23b9c, v46, v40 op_sel:[0,0,1] op_sel_hi:[1,1,0] neg_lo:[0,0,1] neg_hi:[0,0,1]
	v_fmac_f16_e32 v24, 0x3a79, v45
	v_bfi_b32 v0, 0xffff, v4, v0
	v_pk_fma_f16 v4, 0x34f23b9c, v46, v40 op_sel:[0,0,1] op_sel_hi:[1,1,0]
	v_fmac_f16_e32 v9, 0x34f2, v8
	v_fmac_f16_e32 v3, 0x34f2, v8
	v_fma_f16 v2, v2, 0x38b4, -v7
	v_pk_add_f16 v0, v5, v0 op_sel_hi:[0,1]
	v_bfi_b32 v8, 0xffff, v11, v4
	v_mul_u32_u24_e32 v7, 10, v23
	v_add_f16_e32 v10, v6, v1
	v_add_f16_e32 v5, v9, v24
	v_bfi_b32 v9, 0xffff, v9, v0
	v_pk_add_f16 v8, v0, v8
	v_lshlrev_b32_e32 v7, 1, v7
	v_bfi_b32 v4, 0xffff, v24, v4
	v_add_f16_e32 v17, v3, v2
	v_sub_f16_e32 v1, v1, v6
	v_pack_b32_f16 v0, v0, v3
	v_pack_b32_f16 v2, v11, v2
	v_add3_u32 v3, 0, v7, v25
	v_alignbit_b32 v6, v8, v8, 16
	v_pack_b32_f16 v5, v10, v5
	v_pk_add_f16 v4, v9, v4 neg_lo:[0,1] neg_hi:[0,1]
	v_pack_b32_f16 v1, v17, v1
	v_pk_add_f16 v0, v0, v2 neg_lo:[0,1] neg_hi:[0,1]
	ds_write2_b32 v3, v5, v6 offset1:1
	ds_write2_b32 v3, v1, v4 offset0:2 offset1:3
	ds_write_b32 v3, v0 offset:16
.LBB0_19:
	s_or_b32 exec_lo, exec_lo, s1
	v_and_b32_e32 v0, 0xff, v20
	v_and_b32_e32 v1, 0xff, v23
	v_add_nc_u32_e32 v24, 60, v20
	v_mov_b32_e32 v4, 4
	s_waitcnt lgkmcnt(0)
	v_mul_lo_u16 v0, 0xcd, v0
	s_barrier
	v_and_b32_e32 v5, 0xff, v24
	buffer_gl0_inv
	v_mov_b32_e32 v66, 1
	v_lshrrev_b16 v48, 11, v0
	v_mul_lo_u16 v0, 0xcd, v1
	v_mul_lo_u16 v5, 0xcd, v5
	v_add_nc_u32_e32 v26, 0x5a, v20
	v_add_nc_u32_e32 v27, 0x78, v20
	v_mul_lo_u16 v1, v48, 10
	v_lshrrev_b16 v49, 11, v0
	v_lshrrev_b16 v52, 11, v5
	v_and_b32_e32 v70, 0xffff, v48
	v_and_b32_e32 v68, 0xff, v26
	v_sub_nc_u16 v50, v20, v1
	v_mul_lo_u16 v0, v49, 10
	v_mul_lo_u16 v5, v52, 10
	v_and_b32_e32 v49, 0xffff, v49
	v_and_b32_e32 v52, 0xffff, v52
	v_lshlrev_b32_sdwa v1, v4, v50 dst_sel:DWORD dst_unused:UNUSED_PAD src0_sel:DWORD src1_sel:BYTE_0
	v_sub_nc_u16 v51, v23, v0
	v_sub_nc_u16 v53, v24, v5
	v_mad_u32_u24 v70, 0x64, v70, 0
	v_mad_u32_u24 v49, 0x64, v49, 0
	global_load_dwordx4 v[0:3], v1, s[12:13]
	v_lshlrev_b32_sdwa v6, v4, v51 dst_sel:DWORD dst_unused:UNUSED_PAD src0_sel:DWORD src1_sel:BYTE_0
	v_lshlrev_b32_sdwa v4, v4, v53 dst_sel:DWORD dst_unused:UNUSED_PAD src0_sel:DWORD src1_sel:BYTE_0
	;; [unrolled: 1-line block ×4, first 2 shown]
	v_mad_u32_u24 v52, 0x64, v52, 0
	s_clause 0x1
	global_load_dwordx4 v[8:11], v6, s[12:13]
	global_load_dwordx4 v[4:7], v4, s[12:13]
	ds_read_u16 v45, v21
	ds_read_u16 v35, v22 offset:60
	ds_read_u16 v54, v22 offset:420
	;; [unrolled: 1-line block ×14, first 2 shown]
	v_lshlrev_b32_sdwa v53, v66, v53 dst_sel:DWORD dst_unused:UNUSED_PAD src0_sel:DWORD src1_sel:BYTE_0
	v_add3_u32 v50, v70, v50, v25
	v_add3_u32 v49, v49, v51, v25
	v_and_b32_e32 v69, 0xff, v27
	v_mul_lo_u16 v68, v68, 41
	v_add3_u32 v51, v52, v53, v25
	v_mov_b32_e32 v17, 0
	v_subrev_nc_u32_e32 v46, 20, v20
	v_mul_lo_u16 v69, v69, 41
	v_cmp_gt_u32_e64 s0, 20, v20
	v_lshrrev_b16 v68, 11, v68
	v_lshlrev_b64 v[18:19], 2, v[16:17]
	v_add_nc_u32_e32 v16, 20, v16
	v_lshrrev_b16 v69, 11, v69
	v_cndmask_b32_e64 v46, v46, v23, s0
	v_mul_lo_u16 v71, v68, 50
	v_mov_b32_e32 v47, v17
	v_add_co_u32 v18, s0, s12, v18
	v_lshlrev_b32_e32 v46, 1, v46
	v_add_co_ci_u32_e64 v19, s0, s13, v19, s0
	v_mov_b32_e32 v67, 3
	s_waitcnt vmcnt(0) lgkmcnt(0)
	v_lshlrev_b64 v[47:48], 2, v[46:47]
	s_barrier
	buffer_gl0_inv
	v_add_co_u32 v47, s0, s12, v47
	v_add_co_ci_u32_e64 v48, s0, s13, v48, s0
	v_mul_f16_sdwa v52, v58, v0 dst_sel:DWORD dst_unused:UNUSED_PAD src0_sel:DWORD src1_sel:WORD_1
	v_mul_f16_sdwa v53, v43, v0 dst_sel:DWORD dst_unused:UNUSED_PAD src0_sel:DWORD src1_sel:WORD_1
	;; [unrolled: 1-line block ×9, first 2 shown]
	v_fmac_f16_e32 v52, v43, v0
	v_mul_f16_sdwa v43, v54, v9 dst_sel:DWORD dst_unused:UNUSED_PAD src0_sel:DWORD src1_sel:WORD_1
	v_fma_f16 v0, v58, v0, -v53
	v_mul_f16_sdwa v53, v36, v9 dst_sel:DWORD dst_unused:UNUSED_PAD src0_sel:DWORD src1_sel:WORD_1
	v_fmac_f16_e32 v70, v41, v1
	v_mul_f16_sdwa v41, v63, v10 dst_sel:DWORD dst_unused:UNUSED_PAD src0_sel:DWORD src1_sel:WORD_1
	v_fma_f16 v1, v55, v1, -v72
	v_mul_f16_sdwa v55, v39, v10 dst_sel:DWORD dst_unused:UNUSED_PAD src0_sel:DWORD src1_sel:WORD_1
	v_fmac_f16_e32 v73, v44, v2
	v_mul_f16_sdwa v44, v60, v11 dst_sel:DWORD dst_unused:UNUSED_PAD src0_sel:DWORD src1_sel:WORD_1
	v_mul_f16_sdwa v78, v37, v8 dst_sel:DWORD dst_unused:UNUSED_PAD src0_sel:DWORD src1_sel:WORD_1
	v_fma_f16 v2, v64, v2, -v74
	v_mul_f16_sdwa v58, v38, v11 dst_sel:DWORD dst_unused:UNUSED_PAD src0_sel:DWORD src1_sel:WORD_1
	v_fmac_f16_e32 v75, v42, v3
	v_fma_f16 v3, v61, v3, -v76
	v_fmac_f16_e32 v77, v37, v8
	v_fmac_f16_e32 v43, v36, v9
	v_fma_f16 v9, v54, v9, -v53
	v_fmac_f16_e32 v41, v39, v10
	v_fma_f16 v10, v63, v10, -v55
	v_fmac_f16_e32 v44, v38, v11
	v_mul_f16_sdwa v36, v56, v4 dst_sel:DWORD dst_unused:UNUSED_PAD src0_sel:DWORD src1_sel:WORD_1
	v_mul_f16_sdwa v37, v31, v4 dst_sel:DWORD dst_unused:UNUSED_PAD src0_sel:DWORD src1_sel:WORD_1
	;; [unrolled: 1-line block ×8, first 2 shown]
	v_fma_f16 v8, v57, v8, -v78
	v_fma_f16 v11, v60, v11, -v58
	v_fmac_f16_e32 v36, v31, v4
	v_fma_f16 v4, v56, v4, -v37
	v_fmac_f16_e32 v38, v34, v5
	;; [unrolled: 2-line block ×4, first 2 shown]
	v_fma_f16 v7, v59, v7, -v55
	v_add_f16_e32 v31, v28, v52
	v_add_f16_e32 v32, v70, v73
	v_sub_f16_e32 v37, v52, v70
	v_sub_f16_e32 v39, v75, v73
	v_add_f16_e32 v53, v52, v75
	v_sub_f16_e32 v55, v70, v52
	v_sub_f16_e32 v56, v73, v75
	v_add_f16_e32 v57, v45, v0
	v_add_f16_e32 v58, v1, v2
	v_sub_f16_e32 v60, v0, v1
	v_sub_f16_e32 v61, v3, v2
	v_add_f16_e32 v62, v0, v3
	v_add_f16_e32 v64, v29, v77
	v_sub_f16_e32 v74, v77, v43
	v_sub_f16_e32 v76, v44, v41
	;; [unrolled: 1-line block ×7, first 2 shown]
	v_add_f16_e32 v65, v43, v41
	v_add_f16_e32 v31, v31, v70
	v_sub_f16_e32 v70, v43, v77
	v_add_f16_e32 v37, v37, v39
	v_sub_f16_e32 v39, v41, v44
	v_fma_f16 v32, -0.5, v32, v28
	v_fmac_f16_e32 v28, -0.5, v53
	v_add_f16_e32 v53, v35, v8
	v_add_f16_e32 v55, v55, v56
	;; [unrolled: 1-line block ×4, first 2 shown]
	v_sub_f16_e32 v57, v43, v41
	v_add_f16_e32 v60, v60, v61
	v_sub_f16_e32 v61, v8, v9
	v_fma_f16 v58, -0.5, v58, v45
	v_fmac_f16_e32 v45, -0.5, v62
	v_sub_f16_e32 v62, v11, v10
	v_add_f16_e32 v43, v64, v43
	v_sub_f16_e32 v64, v9, v8
	v_add_f16_e32 v74, v74, v76
	v_sub_f16_e32 v76, v10, v11
	v_sub_f16_e32 v72, v9, v10
	v_add_f16_e32 v63, v0, v63
	v_add_f16_e32 v0, v8, v11
	;; [unrolled: 1-line block ×4, first 2 shown]
	v_fma_f16 v53, -0.5, v56, v35
	v_add_f16_e32 v56, v61, v62
	v_add_f16_e32 v61, v64, v76
	v_sub_f16_e32 v64, v36, v38
	v_sub_f16_e32 v70, v54, v42
	v_fmac_f16_e32 v35, -0.5, v0
	v_add_f16_e32 v0, v38, v42
	v_add_f16_e32 v76, v36, v54
	;; [unrolled: 1-line block ×4, first 2 shown]
	v_sub_f16_e32 v10, v4, v5
	v_add_f16_e32 v43, v64, v70
	v_sub_f16_e32 v64, v7, v6
	v_add_f16_e32 v78, v77, v44
	v_add_f16_e32 v62, v30, v36
	v_fma_f16 v70, -0.5, v0, v30
	v_fmac_f16_e32 v30, -0.5, v76
	v_sub_f16_e32 v76, v5, v4
	v_add_f16_e32 v10, v10, v64
	v_sub_f16_e32 v64, v6, v7
	v_add_f16_e32 v2, v1, v2
	v_sub_f16_e32 v52, v52, v75
	v_fma_f16 v65, -0.5, v65, v29
	v_fmac_f16_e32 v29, -0.5, v78
	v_sub_f16_e32 v78, v38, v36
	v_add_f16_e32 v31, v31, v73
	v_sub_f16_e32 v73, v42, v54
	v_add_f16_e32 v1, v5, v6
	v_add_f16_e32 v0, v4, v7
	;; [unrolled: 1-line block ×3, first 2 shown]
	v_fmamk_f16 v76, v34, 0x3b9c, v28
	v_fmac_f16_e32 v28, 0xbb9c, v34
	v_add_f16_e32 v79, v40, v4
	v_fmamk_f16 v80, v33, 0xbb9c, v32
	v_fmac_f16_e32 v32, 0x3b9c, v33
	v_add_f16_e32 v2, v2, v3
	;; [unrolled: 3-line block ×3, first 2 shown]
	v_fma_f16 v78, -0.5, v1, v40
	v_fmac_f16_e32 v40, -0.5, v0
	v_lshlrev_b64 v[0:1], 2, v[16:17]
	v_mul_lo_u16 v16, v69, 50
	v_sub_f16_e32 v8, v8, v11
	v_sub_f16_e32 v69, v77, v44
	v_fmac_f16_e32 v76, 0xb8b4, v33
	v_fmac_f16_e32 v28, 0x38b4, v33
	v_fmamk_f16 v33, v52, 0x3b9c, v58
	v_fmac_f16_e32 v58, 0xbb9c, v52
	v_fmac_f16_e32 v80, 0xb8b4, v34
	;; [unrolled: 1-line block ×3, first 2 shown]
	v_sub_nc_u16 v34, v26, v71
	v_sub_f16_e32 v4, v4, v7
	v_add_f16_e32 v71, v79, v5
	v_sub_f16_e32 v5, v5, v6
	v_add_f16_e32 v62, v62, v38
	v_fmac_f16_e32 v3, 0x38b4, v52
	v_fmac_f16_e32 v45, 0xb8b4, v52
	v_fmamk_f16 v52, v72, 0x3b9c, v29
	v_fmac_f16_e32 v29, 0xbb9c, v72
	v_sub_f16_e32 v36, v36, v54
	v_sub_f16_e32 v38, v38, v42
	v_fmac_f16_e32 v33, 0x38b4, v59
	v_fmac_f16_e32 v58, 0xb8b4, v59
	v_fmamk_f16 v59, v8, 0xbb9c, v65
	v_fmac_f16_e32 v65, 0x3b9c, v8
	v_add_f16_e32 v41, v41, v44
	v_fmamk_f16 v44, v69, 0x3b9c, v53
	v_fmac_f16_e32 v53, 0xbb9c, v69
	v_fmac_f16_e32 v52, 0xb8b4, v8
	;; [unrolled: 1-line block ×3, first 2 shown]
	v_add_f16_e32 v8, v9, v11
	v_add_f16_e32 v9, v62, v42
	v_fmamk_f16 v11, v4, 0xbb9c, v70
	v_fmamk_f16 v42, v5, 0x3b9c, v30
	v_fmac_f16_e32 v30, 0xbb9c, v5
	v_fmac_f16_e32 v59, 0xb8b4, v72
	;; [unrolled: 1-line block ×3, first 2 shown]
	v_fmamk_f16 v72, v57, 0xbb9c, v35
	v_fmac_f16_e32 v35, 0x3b9c, v57
	v_fmac_f16_e32 v44, 0x38b4, v57
	;; [unrolled: 1-line block ×4, first 2 shown]
	v_fmamk_f16 v57, v36, 0x3b9c, v78
	v_fmac_f16_e32 v78, 0xbb9c, v36
	v_fmamk_f16 v62, v38, 0xbb9c, v40
	v_fmac_f16_e32 v40, 0x3b9c, v38
	v_add_f16_e32 v6, v71, v6
	v_fmac_f16_e32 v11, 0xb8b4, v5
	v_fmac_f16_e32 v42, 0xb8b4, v4
	;; [unrolled: 1-line block ×3, first 2 shown]
	v_add_f16_e32 v31, v31, v75
	v_fmac_f16_e32 v72, 0x38b4, v69
	v_fmac_f16_e32 v35, 0xb8b4, v69
	;; [unrolled: 1-line block ×8, first 2 shown]
	v_sub_nc_u16 v16, v27, v16
	v_fmac_f16_e32 v76, 0x34f2, v55
	v_fmac_f16_e32 v33, 0x34f2, v60
	v_fmac_f16_e32 v28, 0x34f2, v55
	v_fmac_f16_e32 v3, 0x34f2, v63
	v_add_co_u32 v0, s0, s12, v0
	v_fmac_f16_e32 v32, 0x34f2, v37
	v_fmac_f16_e32 v45, 0x34f2, v63
	;; [unrolled: 1-line block ×5, first 2 shown]
	v_add_f16_e32 v4, v6, v7
	v_fmac_f16_e32 v11, 0x34f2, v43
	v_fmac_f16_e32 v42, 0x34f2, v73
	;; [unrolled: 1-line block ×3, first 2 shown]
	v_add_co_ci_u32_e64 v1, s0, s13, v1, s0
	v_lshlrev_b32_sdwa v6, v67, v34 dst_sel:DWORD dst_unused:UNUSED_PAD src0_sel:DWORD src1_sel:BYTE_0
	v_fmac_f16_e32 v59, 0x34f2, v74
	v_fmac_f16_e32 v65, 0x34f2, v74
	;; [unrolled: 1-line block ×6, first 2 shown]
	v_add_f16_e32 v9, v9, v54
	ds_write_b16 v50, v31
	v_fmac_f16_e32 v70, 0x34f2, v43
	v_fmac_f16_e32 v57, 0x34f2, v10
	;; [unrolled: 1-line block ×5, first 2 shown]
	ds_write_b16 v50, v80 offset:20
	ds_write_b16 v50, v76 offset:40
	;; [unrolled: 1-line block ×4, first 2 shown]
	ds_write_b16 v49, v41
	ds_write_b16 v49, v59 offset:20
	ds_write_b16 v49, v52 offset:40
	;; [unrolled: 1-line block ×4, first 2 shown]
	ds_write_b16 v51, v9
	ds_write_b16 v51, v11 offset:20
	ds_write_b16 v51, v42 offset:40
	;; [unrolled: 1-line block ×4, first 2 shown]
	s_waitcnt lgkmcnt(0)
	s_barrier
	buffer_gl0_inv
	ds_read_u16 v10, v22 offset:420
	ds_read_u16 v11, v21
	ds_read_u16 v28, v22 offset:60
	ds_read_u16 v29, v22 offset:120
	;; [unrolled: 1-line block ×13, first 2 shown]
	s_waitcnt lgkmcnt(0)
	s_barrier
	buffer_gl0_inv
	ds_write_b16 v50, v2
	ds_write_b16 v50, v33 offset:20
	ds_write_b16 v50, v3 offset:40
	ds_write_b16 v50, v45 offset:60
	ds_write_b16 v50, v58 offset:80
	ds_write_b16 v49, v8
	ds_write_b16 v49, v44 offset:20
	ds_write_b16 v49, v72 offset:40
	ds_write_b16 v49, v35 offset:60
	ds_write_b16 v49, v53 offset:80
	;; [unrolled: 5-line block ×3, first 2 shown]
	v_lshlrev_b32_sdwa v8, v67, v16 dst_sel:DWORD dst_unused:UNUSED_PAD src0_sel:DWORD src1_sel:BYTE_0
	s_waitcnt lgkmcnt(0)
	s_barrier
	buffer_gl0_inv
	s_clause 0x4
	global_load_dwordx2 v[2:3], v[18:19], off offset:160
	global_load_dwordx2 v[4:5], v[47:48], off offset:160
	;; [unrolled: 1-line block ×3, first 2 shown]
	global_load_dwordx2 v[6:7], v6, s[12:13] offset:160
	global_load_dwordx2 v[8:9], v8, s[12:13] offset:160
	v_cmp_lt_u32_e64 s0, 19, v20
	v_and_b32_e32 v35, 0xffff, v68
	v_lshlrev_b32_sdwa v34, v66, v34 dst_sel:DWORD dst_unused:UNUSED_PAD src0_sel:DWORD src1_sel:BYTE_0
	v_lshlrev_b32_sdwa v16, v66, v16 dst_sel:DWORD dst_unused:UNUSED_PAD src0_sel:DWORD src1_sel:BYTE_0
	ds_read_u16 v40, v22 offset:300
	v_cndmask_b32_e64 v33, 0, 0x12c, s0
	v_mad_u32_u24 v35, 0x12c, v35, 0
	v_add3_u32 v16, 0, v16, v25
	v_add_nc_u32_e32 v33, 0, v33
	v_add3_u32 v34, v35, v34, v25
	ds_read_u16 v35, v22 offset:600
	v_add3_u32 v33, v33, v46, v25
	ds_read_u16 v25, v22 offset:360
	ds_read_u16 v44, v22 offset:420
	;; [unrolled: 1-line block ×4, first 2 shown]
	ds_read_u16 v47, v21
	ds_read_u16 v48, v22 offset:60
	ds_read_u16 v49, v22 offset:120
	;; [unrolled: 1-line block ×8, first 2 shown]
	s_waitcnt vmcnt(0) lgkmcnt(0)
	s_barrier
	buffer_gl0_inv
	v_mul_f16_sdwa v57, v40, v2 dst_sel:DWORD dst_unused:UNUSED_PAD src0_sel:DWORD src1_sel:WORD_1
	v_mul_f16_sdwa v59, v35, v3 dst_sel:DWORD dst_unused:UNUSED_PAD src0_sel:DWORD src1_sel:WORD_1
	;; [unrolled: 1-line block ×14, first 2 shown]
	v_fmac_f16_e32 v57, v36, v2
	v_fmac_f16_e32 v59, v43, v3
	v_mul_f16_sdwa v66, v10, v0 dst_sel:DWORD dst_unused:UNUSED_PAD src0_sel:DWORD src1_sel:WORD_1
	v_mul_f16_sdwa v68, v38, v1 dst_sel:DWORD dst_unused:UNUSED_PAD src0_sel:DWORD src1_sel:WORD_1
	;; [unrolled: 1-line block ×6, first 2 shown]
	v_fmac_f16_e32 v61, v32, v4
	v_fmac_f16_e32 v63, v42, v5
	v_fmac_f16_e32 v65, v10, v0
	v_fmac_f16_e32 v67, v38, v1
	v_fmac_f16_e32 v69, v31, v6
	v_fmac_f16_e32 v71, v39, v7
	v_fmac_f16_e32 v73, v52, v8
	v_fmac_f16_e32 v75, v41, v9
	v_fma_f16 v2, v40, v2, -v58
	v_fma_f16 v3, v35, v3, -v60
	;; [unrolled: 1-line block ×4, first 2 shown]
	v_add_f16_e32 v25, v57, v59
	v_fma_f16 v0, v44, v0, -v66
	v_fma_f16 v1, v46, v1, -v68
	;; [unrolled: 1-line block ×6, first 2 shown]
	v_add_f16_e32 v38, v61, v63
	v_add_f16_e32 v43, v65, v67
	;; [unrolled: 1-line block ×5, first 2 shown]
	v_sub_f16_e32 v31, v2, v3
	v_sub_f16_e32 v39, v4, v5
	v_add_f16_e32 v40, v48, v4
	v_add_f16_e32 v4, v4, v5
	v_fmac_f16_e32 v11, -0.5, v25
	v_add_f16_e32 v32, v47, v2
	v_add_f16_e32 v2, v2, v3
	;; [unrolled: 1-line block ×3, first 2 shown]
	v_sub_f16_e32 v35, v57, v59
	v_sub_f16_e32 v41, v61, v63
	v_add_f16_e32 v42, v29, v65
	v_sub_f16_e32 v44, v0, v1
	v_add_f16_e32 v45, v49, v0
	v_add_f16_e32 v0, v0, v1
	v_add_f16_e32 v51, v30, v69
	v_sub_f16_e32 v54, v6, v7
	v_add_f16_e32 v55, v50, v6
	v_add_f16_e32 v6, v6, v7
	;; [unrolled: 4-line block ×3, first 2 shown]
	v_fmac_f16_e32 v28, -0.5, v38
	v_fmac_f16_e32 v29, -0.5, v43
	;; [unrolled: 1-line block ×4, first 2 shown]
	v_add_f16_e32 v10, v10, v59
	v_fmac_f16_e32 v48, -0.5, v4
	v_fmamk_f16 v4, v31, 0xbaee, v11
	v_fmac_f16_e32 v11, 0x3aee, v31
	v_fmac_f16_e32 v47, -0.5, v2
	v_add_f16_e32 v2, v36, v63
	v_add_f16_e32 v32, v32, v3
	;; [unrolled: 1-line block ×5, first 2 shown]
	v_fmac_f16_e32 v49, -0.5, v0
	v_add_f16_e32 v0, v51, v71
	v_add_f16_e32 v40, v55, v7
	v_fmac_f16_e32 v50, -0.5, v6
	v_add_f16_e32 v1, v57, v75
	v_fmac_f16_e32 v53, -0.5, v8
	v_fmamk_f16 v5, v39, 0xbaee, v28
	v_fmac_f16_e32 v28, 0x3aee, v39
	v_fmamk_f16 v6, v44, 0xbaee, v29
	v_fmac_f16_e32 v29, 0x3aee, v44
	v_fmamk_f16 v7, v54, 0xbaee, v30
	v_fmamk_f16 v8, v60, 0xbaee, v37
	v_add_f16_e32 v42, v61, v9
	v_fmac_f16_e32 v30, 0x3aee, v54
	v_fmac_f16_e32 v37, 0x3aee, v60
	ds_write_b16 v22, v10
	ds_write_b16 v22, v4 offset:100
	ds_write_b16 v22, v11 offset:200
	ds_write_b16 v33, v2
	ds_write_b16 v33, v5 offset:100
	ds_write_b16 v33, v28 offset:200
	;; [unrolled: 1-line block ×5, first 2 shown]
	ds_write_b16 v34, v0
	ds_write_b16 v34, v7 offset:100
	ds_write_b16 v34, v30 offset:200
	;; [unrolled: 1-line block ×5, first 2 shown]
	s_waitcnt lgkmcnt(0)
	s_barrier
	buffer_gl0_inv
	ds_read_u16 v7, v22 offset:420
	ds_read_u16 v1, v21
	ds_read_u16 v0, v22 offset:60
	ds_read_u16 v2, v22 offset:120
	;; [unrolled: 1-line block ×13, first 2 shown]
	v_sub_f16_e32 v46, v65, v67
	v_sub_f16_e32 v56, v69, v71
	;; [unrolled: 1-line block ×3, first 2 shown]
	v_fmamk_f16 v31, v35, 0x3aee, v47
	v_fmac_f16_e32 v47, 0xbaee, v35
	v_fmamk_f16 v35, v41, 0x3aee, v48
	v_fmac_f16_e32 v48, 0xbaee, v41
	;; [unrolled: 2-line block ×5, first 2 shown]
	s_waitcnt lgkmcnt(0)
	s_barrier
	buffer_gl0_inv
	ds_write_b16 v22, v32
	ds_write_b16 v22, v31 offset:100
	ds_write_b16 v22, v47 offset:200
	ds_write_b16 v33, v36
	ds_write_b16 v33, v35 offset:100
	ds_write_b16 v33, v48 offset:200
	;; [unrolled: 1-line block ×5, first 2 shown]
	ds_write_b16 v34, v40
	ds_write_b16 v34, v41 offset:100
	ds_write_b16 v34, v50 offset:200
	;; [unrolled: 1-line block ×5, first 2 shown]
	s_waitcnt lgkmcnt(0)
	s_barrier
	buffer_gl0_inv
	s_and_saveexec_b32 s0, vcc_lo
	s_cbranch_execz .LBB0_21
; %bb.20:
	v_lshlrev_b32_e32 v16, 1, v27
	v_mul_lo_u32 v35, s4, v15
	v_mul_lo_u32 v34, s5, v14
	v_add_nc_u32_e32 v36, 30, v20
	v_add_nc_u32_e32 v37, 60, v20
	v_lshlrev_b64 v[30:31], 2, v[16:17]
	v_lshlrev_b32_e32 v16, 1, v26
	v_add_nc_u32_e32 v38, 0x5a, v20
	v_add_nc_u32_e32 v39, 0x78, v20
	v_mul_hi_u32 v40, 0x1b4e81b5, v36
	v_mul_hi_u32 v41, 0x1b4e81b5, v37
	v_lshlrev_b64 v[26:27], 2, v[16:17]
	v_lshlrev_b32_e32 v16, 1, v24
	v_add_co_u32 v30, vcc_lo, s12, v30
	v_add_co_ci_u32_e32 v31, vcc_lo, s13, v31, vcc_lo
	v_lshlrev_b64 v[32:33], 2, v[16:17]
	v_lshlrev_b32_e32 v16, 1, v23
	v_add_co_u32 v23, vcc_lo, s12, v26
	v_add_co_ci_u32_e32 v24, vcc_lo, s13, v27, vcc_lo
	v_lshlrev_b64 v[15:16], 2, v[16:17]
	v_mul_hi_u32 v17, 0x1b4e81b5, v20
	v_add_co_u32 v26, vcc_lo, s12, v32
	v_add_co_ci_u32_e32 v27, vcc_lo, s13, v33, vcc_lo
	v_mad_u64_u32 v[32:33], null, s4, v14, 0
	v_mul_hi_u32 v42, 0x1b4e81b5, v38
	v_lshrrev_b32_e32 v17, 4, v17
	v_mul_hi_u32 v43, 0x1b4e81b5, v39
	v_add_co_u32 v14, vcc_lo, s12, v15
	v_add_co_ci_u32_e32 v15, vcc_lo, s13, v16, vcc_lo
	v_add3_u32 v33, v33, v35, v34
	v_mul_lo_u32 v34, 0x96, v17
	v_lshrrev_b32_e32 v40, 4, v40
	v_lshrrev_b32_e32 v41, 4, v41
	;; [unrolled: 1-line block ×3, first 2 shown]
	v_lshlrev_b64 v[16:17], 2, v[32:33]
	v_lshlrev_b64 v[12:13], 2, v[12:13]
	v_lshrrev_b32_e32 v43, 4, v43
	v_mul_lo_u32 v32, 0x96, v40
	v_mul_lo_u32 v33, 0x96, v41
	v_sub_nc_u32_e32 v45, v20, v34
	v_add_co_u32 v16, vcc_lo, s10, v16
	v_add_co_ci_u32_e32 v17, vcc_lo, s11, v17, vcc_lo
	v_mul_lo_u32 v35, 0x96, v42
	v_mul_lo_u32 v44, 0x96, v43
	v_add_nc_u32_e32 v49, 0x96, v45
	v_add_co_u32 v69, vcc_lo, v16, v12
	v_add_co_ci_u32_e32 v70, vcc_lo, v17, v13, vcc_lo
	v_add_nc_u32_e32 v51, 0x12c, v45
	v_sub_nc_u32_e32 v16, v36, v32
	v_sub_nc_u32_e32 v17, v37, v33
	v_mad_u64_u32 v[33:34], null, s2, v49, 0
	v_mad_u64_u32 v[12:13], null, s2, v45, 0
	v_sub_nc_u32_e32 v20, v38, v35
	v_sub_nc_u32_e32 v32, v39, v44
	v_mad_u64_u32 v[35:36], null, s2, v51, 0
	v_mad_u64_u32 v[37:38], null, 0x1c2, v40, v[16:17]
	v_mad_u64_u32 v[38:39], null, 0x1c2, v42, v[20:21]
	v_mad_u64_u32 v[16:17], null, 0x1c2, v41, v[17:18]
	v_mad_u64_u32 v[39:40], null, 0x1c2, v43, v[32:33]
	v_mad_u64_u32 v[40:41], null, s3, v45, v[13:14]
	v_mov_b32_e32 v13, v34
	v_mov_b32_e32 v17, v36
	v_mad_u64_u32 v[41:42], null, s2, v37, 0
	v_mad_u64_u32 v[45:46], null, s2, v38, 0
	;; [unrolled: 1-line block ×3, first 2 shown]
	v_add_nc_u32_e32 v63, 0x96, v37
	v_add_nc_u32_e32 v64, 0x12c, v37
	v_mad_u64_u32 v[43:44], null, s2, v16, 0
	v_add_nc_u32_e32 v65, 0x96, v16
	v_mad_u64_u32 v[47:48], null, s2, v39, 0
	v_mad_u64_u32 v[50:51], null, s3, v51, v[17:18]
	v_mov_b32_e32 v17, v42
	v_mad_u64_u32 v[51:52], null, s2, v63, 0
	v_mad_u64_u32 v[53:54], null, s2, v64, 0
	;; [unrolled: 1-line block ×3, first 2 shown]
	v_add_nc_u32_e32 v66, 0x12c, v16
	v_add_nc_u32_e32 v67, 0x96, v38
	v_mov_b32_e32 v32, v46
	v_mov_b32_e32 v34, v49
	;; [unrolled: 1-line block ×4, first 2 shown]
	v_mad_u64_u32 v[49:50], null, s3, v37, v[17:18]
	v_mov_b32_e32 v17, v48
	v_mad_u64_u32 v[57:58], null, s2, v66, 0
	v_mad_u64_u32 v[59:60], null, s2, v67, 0
	v_add_nc_u32_e32 v68, 0x12c, v38
	v_mad_u64_u32 v[37:38], null, s3, v38, v[32:33]
	v_add_nc_u32_e32 v71, 0x96, v39
	v_add_nc_u32_e32 v72, 0x12c, v39
	v_mad_u64_u32 v[61:62], null, s3, v16, v[20:21]
	v_mov_b32_e32 v16, v52
	v_mov_b32_e32 v20, v54
	v_mad_u64_u32 v[38:39], null, s3, v39, v[17:18]
	v_mov_b32_e32 v17, v56
	v_mov_b32_e32 v13, v40
	;; [unrolled: 1-line block ×3, first 2 shown]
	v_mad_u64_u32 v[49:50], null, s2, v71, 0
	v_mad_u64_u32 v[39:40], null, s3, v63, v[16:17]
	;; [unrolled: 1-line block ×3, first 2 shown]
	v_mov_b32_e32 v16, v58
	v_mad_u64_u32 v[63:64], null, s3, v65, v[17:18]
	v_mov_b32_e32 v17, v60
	v_lshlrev_b64 v[12:13], 2, v[12:13]
	v_mov_b32_e32 v44, v61
	v_mov_b32_e32 v46, v37
	;; [unrolled: 1-line block ×3, first 2 shown]
	v_mad_u64_u32 v[64:65], null, s3, v66, v[16:17]
	v_mad_u64_u32 v[65:66], null, s2, v68, 0
	;; [unrolled: 1-line block ×3, first 2 shown]
	v_add_co_u32 v12, vcc_lo, v69, v12
	v_add_co_ci_u32_e32 v13, vcc_lo, v70, v13, vcc_lo
	v_mov_b32_e32 v17, v66
	v_mov_b32_e32 v56, v63
	;; [unrolled: 1-line block ×5, first 2 shown]
	v_mad_u64_u32 v[66:67], null, s3, v68, v[17:18]
	v_mov_b32_e32 v17, v50
	v_mov_b32_e32 v60, v16
	v_lshlrev_b64 v[39:40], 2, v[43:44]
	v_lshlrev_b64 v[43:44], 2, v[51:52]
	;; [unrolled: 1-line block ×3, first 2 shown]
	v_mad_u64_u32 v[67:68], null, s3, v71, v[17:18]
	s_clause 0x4
	global_load_dwordx2 v[30:31], v[30:31], off offset:560
	global_load_dwordx2 v[23:24], v[23:24], off offset:560
	;; [unrolled: 1-line block ×5, first 2 shown]
	v_lshlrev_b64 v[19:20], 2, v[33:34]
	v_lshlrev_b64 v[34:35], 2, v[35:36]
	v_mad_u64_u32 v[32:33], null, s2, v72, 0
	v_lshlrev_b64 v[55:56], 2, v[59:60]
	v_mov_b32_e32 v50, v67
	v_add_co_u32 v19, vcc_lo, v69, v19
	v_add_co_ci_u32_e32 v20, vcc_lo, v70, v20, vcc_lo
	v_add_co_u32 v34, vcc_lo, v69, v34
	v_add_co_ci_u32_e32 v35, vcc_lo, v70, v35, vcc_lo
	v_mad_u64_u32 v[36:37], null, s3, v72, v[33:34]
	ds_read_u16 v33, v22 offset:840
	ds_read_u16 v61, v22 offset:780
	ds_read_u16 v62, v22 offset:720
	ds_read_u16 v63, v22 offset:660
	ds_read_u16 v68, v22 offset:600
	ds_read_u16 v71, v22 offset:540
	ds_read_u16 v72, v22 offset:480
	v_lshlrev_b64 v[37:38], 2, v[41:42]
	v_lshlrev_b64 v[41:42], 2, v[45:46]
	;; [unrolled: 1-line block ×5, first 2 shown]
	ds_read_u16 v64, v22 offset:420
	ds_read_u16 v65, v22 offset:360
	ds_read_u16 v66, v22 offset:300
	ds_read_u16 v67, v22 offset:240
	v_add_co_u32 v37, vcc_lo, v69, v37
	v_add_co_ci_u32_e32 v38, vcc_lo, v70, v38, vcc_lo
	v_add_co_u32 v39, vcc_lo, v69, v39
	v_add_co_ci_u32_e32 v40, vcc_lo, v70, v40, vcc_lo
	v_add_co_u32 v41, vcc_lo, v69, v41
	v_add_co_ci_u32_e32 v42, vcc_lo, v70, v42, vcc_lo
	v_add_co_u32 v43, vcc_lo, v69, v43
	v_add_co_ci_u32_e32 v44, vcc_lo, v70, v44, vcc_lo
	v_add_co_u32 v45, vcc_lo, v69, v45
	v_add_co_ci_u32_e32 v46, vcc_lo, v70, v46, vcc_lo
	v_add_co_u32 v51, vcc_lo, v69, v51
	v_add_co_ci_u32_e32 v52, vcc_lo, v70, v52, vcc_lo
	v_add_co_u32 v53, vcc_lo, v69, v53
	v_add_co_ci_u32_e32 v54, vcc_lo, v70, v54, vcc_lo
	v_add_co_u32 v55, vcc_lo, v69, v55
	v_add_co_ci_u32_e32 v56, vcc_lo, v70, v56, vcc_lo
	v_add_co_u32 v57, vcc_lo, v69, v57
	v_add_co_ci_u32_e32 v58, vcc_lo, v70, v58, vcc_lo
	s_waitcnt vmcnt(4)
	v_mul_f16_sdwa v16, v29, v30 dst_sel:DWORD dst_unused:UNUSED_PAD src0_sel:DWORD src1_sel:WORD_1
	v_mul_f16_sdwa v59, v28, v31 dst_sel:DWORD dst_unused:UNUSED_PAD src0_sel:DWORD src1_sel:WORD_1
	s_waitcnt lgkmcnt(5)
	v_mul_f16_sdwa v60, v71, v30 dst_sel:DWORD dst_unused:UNUSED_PAD src0_sel:DWORD src1_sel:WORD_1
	v_mul_f16_sdwa v73, v33, v31 dst_sel:DWORD dst_unused:UNUSED_PAD src0_sel:DWORD src1_sel:WORD_1
	v_fma_f16 v16, v71, v30, -v16
	v_fma_f16 v33, v33, v31, -v59
	ds_read_u16 v59, v22 offset:180
	ds_read_u16 v71, v22 offset:120
	;; [unrolled: 1-line block ×3, first 2 shown]
	ds_read_u16 v75, v21
	v_fmac_f16_e32 v60, v29, v30
	s_waitcnt vmcnt(3)
	v_mul_f16_sdwa v29, v11, v23 dst_sel:DWORD dst_unused:UNUSED_PAD src0_sel:DWORD src1_sel:WORD_1
	v_fmac_f16_e32 v73, v28, v31
	v_mul_f16_sdwa v28, v25, v24 dst_sel:DWORD dst_unused:UNUSED_PAD src0_sel:DWORD src1_sel:WORD_1
	s_waitcnt lgkmcnt(8)
	v_mul_f16_sdwa v30, v72, v23 dst_sel:DWORD dst_unused:UNUSED_PAD src0_sel:DWORD src1_sel:WORD_1
	v_mul_f16_sdwa v31, v61, v24 dst_sel:DWORD dst_unused:UNUSED_PAD src0_sel:DWORD src1_sel:WORD_1
	v_lshlrev_b64 v[21:22], 2, v[47:48]
	v_fma_f16 v29, v72, v23, -v29
	v_add_f16_e32 v47, v16, v33
	v_fma_f16 v28, v61, v24, -v28
	v_sub_f16_e32 v48, v60, v73
	v_fmac_f16_e32 v30, v11, v23
	s_waitcnt lgkmcnt(4)
	v_add_f16_e32 v11, v67, v16
	v_fmac_f16_e32 v31, v25, v24
	v_add_f16_e32 v23, v60, v73
	v_add_f16_e32 v24, v10, v60
	s_waitcnt vmcnt(2)
	v_mul_f16_sdwa v25, v7, v26 dst_sel:DWORD dst_unused:UNUSED_PAD src0_sel:DWORD src1_sel:WORD_1
	v_mul_f16_sdwa v60, v9, v27 dst_sel:DWORD dst_unused:UNUSED_PAD src0_sel:DWORD src1_sel:WORD_1
	v_sub_f16_e32 v16, v16, v33
	v_fma_f16 v47, -0.5, v47, v67
	v_mul_f16_sdwa v61, v64, v26 dst_sel:DWORD dst_unused:UNUSED_PAD src0_sel:DWORD src1_sel:WORD_1
	v_add_f16_e32 v11, v11, v33
	v_mul_f16_sdwa v33, v62, v27 dst_sel:DWORD dst_unused:UNUSED_PAD src0_sel:DWORD src1_sel:WORD_1
	v_fma_f16 v10, -0.5, v23, v10
	s_waitcnt vmcnt(1)
	v_mul_f16_sdwa v23, v6, v17 dst_sel:DWORD dst_unused:UNUSED_PAD src0_sel:DWORD src1_sel:WORD_1
	v_mul_f16_sdwa v67, v8, v18 dst_sel:DWORD dst_unused:UNUSED_PAD src0_sel:DWORD src1_sel:WORD_1
	v_fma_f16 v25, v64, v26, -v25
	v_mul_f16_sdwa v64, v66, v17 dst_sel:DWORD dst_unused:UNUSED_PAD src0_sel:DWORD src1_sel:WORD_1
	v_fma_f16 v60, v62, v27, -v60
	v_mul_f16_sdwa v62, v68, v18 dst_sel:DWORD dst_unused:UNUSED_PAD src0_sel:DWORD src1_sel:WORD_1
	v_fmac_f16_e32 v61, v7, v26
	v_add_f16_e32 v7, v29, v28
	v_fmac_f16_e32 v33, v9, v27
	v_sub_f16_e32 v9, v30, v31
	s_waitcnt lgkmcnt(3)
	v_add_f16_e32 v26, v59, v29
	v_add_f16_e32 v27, v30, v31
	;; [unrolled: 1-line block ×3, first 2 shown]
	v_fma_f16 v23, v66, v17, -v23
	s_waitcnt vmcnt(0)
	v_mul_f16_sdwa v66, v3, v14 dst_sel:DWORD dst_unused:UNUSED_PAD src0_sel:DWORD src1_sel:WORD_1
	v_fma_f16 v67, v68, v18, -v67
	v_mul_f16_sdwa v68, v4, v15 dst_sel:DWORD dst_unused:UNUSED_PAD src0_sel:DWORD src1_sel:WORD_1
	v_fmac_f16_e32 v64, v6, v17
	v_mul_f16_sdwa v6, v65, v14 dst_sel:DWORD dst_unused:UNUSED_PAD src0_sel:DWORD src1_sel:WORD_1
	v_fmac_f16_e32 v62, v8, v18
	v_mul_f16_sdwa v8, v63, v15 dst_sel:DWORD dst_unused:UNUSED_PAD src0_sel:DWORD src1_sel:WORD_1
	v_sub_f16_e32 v29, v29, v28
	v_fmamk_f16 v17, v48, 0xbaee, v47
	v_fmac_f16_e32 v47, 0x3aee, v48
	v_fmamk_f16 v18, v16, 0x3aee, v10
	v_fmac_f16_e32 v10, 0xbaee, v16
	v_fma_f16 v7, -0.5, v7, v59
	v_add_f16_e32 v16, v26, v28
	v_fma_f16 v5, -0.5, v27, v5
	v_add_f16_e32 v26, v30, v31
	v_add_f16_e32 v27, v25, v60
	v_sub_f16_e32 v28, v61, v33
	s_waitcnt lgkmcnt(2)
	v_add_f16_e32 v30, v71, v25
	v_add_f16_e32 v31, v61, v33
	;; [unrolled: 1-line block ×3, first 2 shown]
	v_fma_f16 v59, v65, v14, -v66
	v_fma_f16 v61, v63, v15, -v68
	v_fmac_f16_e32 v6, v3, v14
	v_fmac_f16_e32 v8, v4, v15
	v_add_f16_e32 v3, v23, v67
	v_add_f16_e32 v15, v64, v62
	v_sub_f16_e32 v25, v25, v60
	v_sub_f16_e32 v4, v64, v62
	v_add_f16_e32 v63, v1, v64
	v_fmamk_f16 v64, v9, 0xbaee, v7
	v_fmac_f16_e32 v7, 0x3aee, v9
	v_fmamk_f16 v9, v29, 0x3aee, v5
	v_fmac_f16_e32 v5, 0xbaee, v29
	v_fma_f16 v27, -0.5, v27, v71
	v_add_f16_e32 v29, v30, v60
	v_fma_f16 v2, -0.5, v31, v2
	v_add_f16_e32 v31, v59, v61
	v_add_f16_e32 v60, v6, v8
	s_waitcnt lgkmcnt(0)
	v_add_f16_e32 v14, v75, v23
	v_sub_f16_e32 v23, v23, v67
	v_add_f16_e32 v30, v48, v33
	v_sub_f16_e32 v33, v6, v8
	v_add_f16_e32 v6, v0, v6
	v_fma_f16 v3, -0.5, v3, v75
	v_fma_f16 v1, -0.5, v15, v1
	v_add_f16_e32 v48, v74, v59
	v_sub_f16_e32 v59, v59, v61
	v_pack_b32_f16 v16, v26, v16
	v_fmamk_f16 v26, v28, 0xbaee, v27
	v_fmac_f16_e32 v27, 0x3aee, v28
	v_fmamk_f16 v28, v25, 0x3aee, v2
	v_fmac_f16_e32 v2, 0xbaee, v25
	v_fma_f16 v25, -0.5, v31, v74
	v_fma_f16 v0, -0.5, v60, v0
	v_add_f16_e32 v14, v14, v67
	v_add_f16_e32 v15, v63, v62
	;; [unrolled: 1-line block ×3, first 2 shown]
	v_fmamk_f16 v8, v4, 0xbaee, v3
	v_fmac_f16_e32 v3, 0x3aee, v4
	v_fmamk_f16 v4, v23, 0x3aee, v1
	v_fmac_f16_e32 v1, 0xbaee, v23
	v_add_f16_e32 v31, v48, v61
	v_pack_b32_f16 v7, v5, v7
	v_fmamk_f16 v5, v33, 0xbaee, v25
	v_fmac_f16_e32 v25, 0x3aee, v33
	v_fmamk_f16 v23, v59, 0x3aee, v0
	v_fmac_f16_e32 v0, 0xbaee, v59
	v_pack_b32_f16 v14, v15, v14
	v_pack_b32_f16 v1, v1, v3
	;; [unrolled: 1-line block ×5, first 2 shown]
	v_mov_b32_e32 v33, v36
	v_pack_b32_f16 v5, v23, v5
	v_pack_b32_f16 v15, v30, v29
	global_store_dword v[12:13], v14, off
	v_pack_b32_f16 v2, v2, v27
	v_pack_b32_f16 v6, v28, v26
	global_store_dword v[19:20], v1, off
	global_store_dword v[34:35], v3, off
	;; [unrolled: 1-line block ×9, first 2 shown]
	v_lshlrev_b64 v[0:1], 2, v[49:50]
	v_add_co_u32 v2, vcc_lo, v69, v21
	v_lshlrev_b64 v[4:5], 2, v[32:33]
	v_add_f16_e32 v24, v24, v73
	v_add_co_ci_u32_e32 v3, vcc_lo, v70, v22, vcc_lo
	v_add_co_u32 v0, vcc_lo, v69, v0
	v_pack_b32_f16 v6, v9, v64
	v_add_co_ci_u32_e32 v1, vcc_lo, v70, v1, vcc_lo
	v_pack_b32_f16 v8, v24, v11
	v_add_co_u32 v4, vcc_lo, v69, v4
	v_pack_b32_f16 v9, v10, v47
	v_add_co_ci_u32_e32 v5, vcc_lo, v70, v5, vcc_lo
	v_pack_b32_f16 v10, v18, v17
	global_store_dword v[55:56], v7, off
	global_store_dword v[57:58], v6, off
	;; [unrolled: 1-line block ×5, first 2 shown]
.LBB0_21:
	s_endpgm
	.section	.rodata,"a",@progbits
	.p2align	6, 0x0
	.amdhsa_kernel fft_rtc_back_len450_factors_10_5_3_3_wgs_120_tpt_30_halfLds_half_op_CI_CI_sbrr_dirReg
		.amdhsa_group_segment_fixed_size 0
		.amdhsa_private_segment_fixed_size 0
		.amdhsa_kernarg_size 104
		.amdhsa_user_sgpr_count 6
		.amdhsa_user_sgpr_private_segment_buffer 1
		.amdhsa_user_sgpr_dispatch_ptr 0
		.amdhsa_user_sgpr_queue_ptr 0
		.amdhsa_user_sgpr_kernarg_segment_ptr 1
		.amdhsa_user_sgpr_dispatch_id 0
		.amdhsa_user_sgpr_flat_scratch_init 0
		.amdhsa_user_sgpr_private_segment_size 0
		.amdhsa_wavefront_size32 1
		.amdhsa_uses_dynamic_stack 0
		.amdhsa_system_sgpr_private_segment_wavefront_offset 0
		.amdhsa_system_sgpr_workgroup_id_x 1
		.amdhsa_system_sgpr_workgroup_id_y 0
		.amdhsa_system_sgpr_workgroup_id_z 0
		.amdhsa_system_sgpr_workgroup_info 0
		.amdhsa_system_vgpr_workitem_id 0
		.amdhsa_next_free_vgpr 81
		.amdhsa_next_free_sgpr 31
		.amdhsa_reserve_vcc 1
		.amdhsa_reserve_flat_scratch 0
		.amdhsa_float_round_mode_32 0
		.amdhsa_float_round_mode_16_64 0
		.amdhsa_float_denorm_mode_32 3
		.amdhsa_float_denorm_mode_16_64 3
		.amdhsa_dx10_clamp 1
		.amdhsa_ieee_mode 1
		.amdhsa_fp16_overflow 0
		.amdhsa_workgroup_processor_mode 1
		.amdhsa_memory_ordered 1
		.amdhsa_forward_progress 0
		.amdhsa_shared_vgpr_count 0
		.amdhsa_exception_fp_ieee_invalid_op 0
		.amdhsa_exception_fp_denorm_src 0
		.amdhsa_exception_fp_ieee_div_zero 0
		.amdhsa_exception_fp_ieee_overflow 0
		.amdhsa_exception_fp_ieee_underflow 0
		.amdhsa_exception_fp_ieee_inexact 0
		.amdhsa_exception_int_div_zero 0
	.end_amdhsa_kernel
	.text
.Lfunc_end0:
	.size	fft_rtc_back_len450_factors_10_5_3_3_wgs_120_tpt_30_halfLds_half_op_CI_CI_sbrr_dirReg, .Lfunc_end0-fft_rtc_back_len450_factors_10_5_3_3_wgs_120_tpt_30_halfLds_half_op_CI_CI_sbrr_dirReg
                                        ; -- End function
	.section	.AMDGPU.csdata,"",@progbits
; Kernel info:
; codeLenInByte = 11200
; NumSgprs: 33
; NumVgprs: 81
; ScratchSize: 0
; MemoryBound: 0
; FloatMode: 240
; IeeeMode: 1
; LDSByteSize: 0 bytes/workgroup (compile time only)
; SGPRBlocks: 4
; VGPRBlocks: 10
; NumSGPRsForWavesPerEU: 33
; NumVGPRsForWavesPerEU: 81
; Occupancy: 10
; WaveLimiterHint : 1
; COMPUTE_PGM_RSRC2:SCRATCH_EN: 0
; COMPUTE_PGM_RSRC2:USER_SGPR: 6
; COMPUTE_PGM_RSRC2:TRAP_HANDLER: 0
; COMPUTE_PGM_RSRC2:TGID_X_EN: 1
; COMPUTE_PGM_RSRC2:TGID_Y_EN: 0
; COMPUTE_PGM_RSRC2:TGID_Z_EN: 0
; COMPUTE_PGM_RSRC2:TIDIG_COMP_CNT: 0
	.text
	.p2alignl 6, 3214868480
	.fill 48, 4, 3214868480
	.type	__hip_cuid_8d90a481661a12da,@object ; @__hip_cuid_8d90a481661a12da
	.section	.bss,"aw",@nobits
	.globl	__hip_cuid_8d90a481661a12da
__hip_cuid_8d90a481661a12da:
	.byte	0                               ; 0x0
	.size	__hip_cuid_8d90a481661a12da, 1

	.ident	"AMD clang version 19.0.0git (https://github.com/RadeonOpenCompute/llvm-project roc-6.4.0 25133 c7fe45cf4b819c5991fe208aaa96edf142730f1d)"
	.section	".note.GNU-stack","",@progbits
	.addrsig
	.addrsig_sym __hip_cuid_8d90a481661a12da
	.amdgpu_metadata
---
amdhsa.kernels:
  - .args:
      - .actual_access:  read_only
        .address_space:  global
        .offset:         0
        .size:           8
        .value_kind:     global_buffer
      - .offset:         8
        .size:           8
        .value_kind:     by_value
      - .actual_access:  read_only
        .address_space:  global
        .offset:         16
        .size:           8
        .value_kind:     global_buffer
      - .actual_access:  read_only
        .address_space:  global
        .offset:         24
        .size:           8
        .value_kind:     global_buffer
      - .actual_access:  read_only
        .address_space:  global
        .offset:         32
        .size:           8
        .value_kind:     global_buffer
      - .offset:         40
        .size:           8
        .value_kind:     by_value
      - .actual_access:  read_only
        .address_space:  global
        .offset:         48
        .size:           8
        .value_kind:     global_buffer
      - .actual_access:  read_only
        .address_space:  global
        .offset:         56
        .size:           8
        .value_kind:     global_buffer
      - .offset:         64
        .size:           4
        .value_kind:     by_value
      - .actual_access:  read_only
        .address_space:  global
        .offset:         72
        .size:           8
        .value_kind:     global_buffer
      - .actual_access:  read_only
        .address_space:  global
        .offset:         80
        .size:           8
        .value_kind:     global_buffer
      - .actual_access:  read_only
        .address_space:  global
        .offset:         88
        .size:           8
        .value_kind:     global_buffer
      - .actual_access:  write_only
        .address_space:  global
        .offset:         96
        .size:           8
        .value_kind:     global_buffer
    .group_segment_fixed_size: 0
    .kernarg_segment_align: 8
    .kernarg_segment_size: 104
    .language:       OpenCL C
    .language_version:
      - 2
      - 0
    .max_flat_workgroup_size: 120
    .name:           fft_rtc_back_len450_factors_10_5_3_3_wgs_120_tpt_30_halfLds_half_op_CI_CI_sbrr_dirReg
    .private_segment_fixed_size: 0
    .sgpr_count:     33
    .sgpr_spill_count: 0
    .symbol:         fft_rtc_back_len450_factors_10_5_3_3_wgs_120_tpt_30_halfLds_half_op_CI_CI_sbrr_dirReg.kd
    .uniform_work_group_size: 1
    .uses_dynamic_stack: false
    .vgpr_count:     81
    .vgpr_spill_count: 0
    .wavefront_size: 32
    .workgroup_processor_mode: 1
amdhsa.target:   amdgcn-amd-amdhsa--gfx1030
amdhsa.version:
  - 1
  - 2
...

	.end_amdgpu_metadata
